;; amdgpu-corpus repo=ROCm/rocFFT kind=compiled arch=gfx1100 opt=O3
	.text
	.amdgcn_target "amdgcn-amd-amdhsa--gfx1100"
	.amdhsa_code_object_version 6
	.protected	fft_rtc_back_len320_factors_10_4_4_2_wgs_64_tpt_16_halfLds_half_ip_CI_sbrr_dirReg ; -- Begin function fft_rtc_back_len320_factors_10_4_4_2_wgs_64_tpt_16_halfLds_half_ip_CI_sbrr_dirReg
	.globl	fft_rtc_back_len320_factors_10_4_4_2_wgs_64_tpt_16_halfLds_half_ip_CI_sbrr_dirReg
	.p2align	8
	.type	fft_rtc_back_len320_factors_10_4_4_2_wgs_64_tpt_16_halfLds_half_ip_CI_sbrr_dirReg,@function
fft_rtc_back_len320_factors_10_4_4_2_wgs_64_tpt_16_halfLds_half_ip_CI_sbrr_dirReg: ; @fft_rtc_back_len320_factors_10_4_4_2_wgs_64_tpt_16_halfLds_half_ip_CI_sbrr_dirReg
; %bb.0:
	s_clause 0x2
	s_load_b64 s[12:13], s[0:1], 0x18
	s_load_b128 s[4:7], s[0:1], 0x0
	s_load_b64 s[10:11], s[0:1], 0x50
	v_lshrrev_b32_e32 v10, 4, v0
	v_mov_b32_e32 v1, 0
	v_mov_b32_e32 v3, 0
	;; [unrolled: 1-line block ×3, first 2 shown]
	s_delay_alu instid0(VALU_DEP_4) | instskip(NEXT) | instid1(VALU_DEP_4)
	v_lshl_or_b32 v5, s15, 2, v10
	v_mov_b32_e32 v6, v1
	s_waitcnt lgkmcnt(0)
	s_load_b64 s[8:9], s[12:13], 0x0
	v_cmp_lt_u64_e64 s2, s[6:7], 2
	s_delay_alu instid0(VALU_DEP_1)
	s_and_b32 vcc_lo, exec_lo, s2
	s_cbranch_vccnz .LBB0_8
; %bb.1:
	s_load_b64 s[2:3], s[0:1], 0x10
	v_mov_b32_e32 v3, 0
	s_add_u32 s14, s12, 8
	v_mov_b32_e32 v4, 0
	s_addc_u32 s15, s13, 0
	s_mov_b64 s[18:19], 1
	s_waitcnt lgkmcnt(0)
	s_add_u32 s16, s2, 8
	s_addc_u32 s17, s3, 0
.LBB0_2:                                ; =>This Inner Loop Header: Depth=1
	s_load_b64 s[20:21], s[16:17], 0x0
                                        ; implicit-def: $vgpr7_vgpr8
	s_mov_b32 s2, exec_lo
	s_waitcnt lgkmcnt(0)
	v_or_b32_e32 v2, s21, v6
	s_delay_alu instid0(VALU_DEP_1)
	v_cmpx_ne_u64_e32 0, v[1:2]
	s_xor_b32 s3, exec_lo, s2
	s_cbranch_execz .LBB0_4
; %bb.3:                                ;   in Loop: Header=BB0_2 Depth=1
	v_cvt_f32_u32_e32 v2, s20
	v_cvt_f32_u32_e32 v7, s21
	s_sub_u32 s2, 0, s20
	s_subb_u32 s22, 0, s21
	s_delay_alu instid0(VALU_DEP_1) | instskip(NEXT) | instid1(VALU_DEP_1)
	v_fmac_f32_e32 v2, 0x4f800000, v7
	v_rcp_f32_e32 v2, v2
	s_waitcnt_depctr 0xfff
	v_mul_f32_e32 v2, 0x5f7ffffc, v2
	s_delay_alu instid0(VALU_DEP_1) | instskip(NEXT) | instid1(VALU_DEP_1)
	v_mul_f32_e32 v7, 0x2f800000, v2
	v_trunc_f32_e32 v7, v7
	s_delay_alu instid0(VALU_DEP_1) | instskip(SKIP_1) | instid1(VALU_DEP_2)
	v_fmac_f32_e32 v2, 0xcf800000, v7
	v_cvt_u32_f32_e32 v7, v7
	v_cvt_u32_f32_e32 v2, v2
	s_delay_alu instid0(VALU_DEP_2) | instskip(NEXT) | instid1(VALU_DEP_2)
	v_mul_lo_u32 v8, s2, v7
	v_mul_hi_u32 v9, s2, v2
	v_mul_lo_u32 v11, s22, v2
	s_delay_alu instid0(VALU_DEP_2) | instskip(SKIP_1) | instid1(VALU_DEP_2)
	v_add_nc_u32_e32 v8, v9, v8
	v_mul_lo_u32 v9, s2, v2
	v_add_nc_u32_e32 v8, v8, v11
	s_delay_alu instid0(VALU_DEP_2) | instskip(NEXT) | instid1(VALU_DEP_2)
	v_mul_hi_u32 v11, v2, v9
	v_mul_lo_u32 v12, v2, v8
	v_mul_hi_u32 v13, v2, v8
	v_mul_hi_u32 v14, v7, v9
	v_mul_lo_u32 v9, v7, v9
	v_mul_hi_u32 v15, v7, v8
	v_mul_lo_u32 v8, v7, v8
	v_add_co_u32 v11, vcc_lo, v11, v12
	v_add_co_ci_u32_e32 v12, vcc_lo, 0, v13, vcc_lo
	s_delay_alu instid0(VALU_DEP_2) | instskip(NEXT) | instid1(VALU_DEP_2)
	v_add_co_u32 v9, vcc_lo, v11, v9
	v_add_co_ci_u32_e32 v9, vcc_lo, v12, v14, vcc_lo
	v_add_co_ci_u32_e32 v11, vcc_lo, 0, v15, vcc_lo
	s_delay_alu instid0(VALU_DEP_2) | instskip(NEXT) | instid1(VALU_DEP_2)
	v_add_co_u32 v8, vcc_lo, v9, v8
	v_add_co_ci_u32_e32 v9, vcc_lo, 0, v11, vcc_lo
	s_delay_alu instid0(VALU_DEP_2) | instskip(NEXT) | instid1(VALU_DEP_2)
	v_add_co_u32 v2, vcc_lo, v2, v8
	v_add_co_ci_u32_e32 v7, vcc_lo, v7, v9, vcc_lo
	s_delay_alu instid0(VALU_DEP_2) | instskip(SKIP_1) | instid1(VALU_DEP_3)
	v_mul_hi_u32 v8, s2, v2
	v_mul_lo_u32 v11, s22, v2
	v_mul_lo_u32 v9, s2, v7
	s_delay_alu instid0(VALU_DEP_1) | instskip(SKIP_1) | instid1(VALU_DEP_2)
	v_add_nc_u32_e32 v8, v8, v9
	v_mul_lo_u32 v9, s2, v2
	v_add_nc_u32_e32 v8, v8, v11
	s_delay_alu instid0(VALU_DEP_2) | instskip(NEXT) | instid1(VALU_DEP_2)
	v_mul_hi_u32 v11, v2, v9
	v_mul_lo_u32 v12, v2, v8
	v_mul_hi_u32 v13, v2, v8
	v_mul_hi_u32 v14, v7, v9
	v_mul_lo_u32 v9, v7, v9
	v_mul_hi_u32 v15, v7, v8
	v_mul_lo_u32 v8, v7, v8
	v_add_co_u32 v11, vcc_lo, v11, v12
	v_add_co_ci_u32_e32 v12, vcc_lo, 0, v13, vcc_lo
	s_delay_alu instid0(VALU_DEP_2) | instskip(NEXT) | instid1(VALU_DEP_2)
	v_add_co_u32 v9, vcc_lo, v11, v9
	v_add_co_ci_u32_e32 v9, vcc_lo, v12, v14, vcc_lo
	v_add_co_ci_u32_e32 v11, vcc_lo, 0, v15, vcc_lo
	s_delay_alu instid0(VALU_DEP_2) | instskip(NEXT) | instid1(VALU_DEP_2)
	v_add_co_u32 v8, vcc_lo, v9, v8
	v_add_co_ci_u32_e32 v9, vcc_lo, 0, v11, vcc_lo
	s_delay_alu instid0(VALU_DEP_2) | instskip(NEXT) | instid1(VALU_DEP_2)
	v_add_co_u32 v2, vcc_lo, v2, v8
	v_add_co_ci_u32_e32 v9, vcc_lo, v7, v9, vcc_lo
	s_delay_alu instid0(VALU_DEP_2) | instskip(SKIP_1) | instid1(VALU_DEP_3)
	v_mul_hi_u32 v15, v5, v2
	v_mad_u64_u32 v[11:12], null, v6, v2, 0
	v_mad_u64_u32 v[7:8], null, v5, v9, 0
	;; [unrolled: 1-line block ×3, first 2 shown]
	s_delay_alu instid0(VALU_DEP_2) | instskip(NEXT) | instid1(VALU_DEP_3)
	v_add_co_u32 v2, vcc_lo, v15, v7
	v_add_co_ci_u32_e32 v7, vcc_lo, 0, v8, vcc_lo
	s_delay_alu instid0(VALU_DEP_2) | instskip(NEXT) | instid1(VALU_DEP_2)
	v_add_co_u32 v2, vcc_lo, v2, v11
	v_add_co_ci_u32_e32 v2, vcc_lo, v7, v12, vcc_lo
	v_add_co_ci_u32_e32 v7, vcc_lo, 0, v14, vcc_lo
	s_delay_alu instid0(VALU_DEP_2) | instskip(NEXT) | instid1(VALU_DEP_2)
	v_add_co_u32 v2, vcc_lo, v2, v13
	v_add_co_ci_u32_e32 v9, vcc_lo, 0, v7, vcc_lo
	s_delay_alu instid0(VALU_DEP_2) | instskip(SKIP_1) | instid1(VALU_DEP_3)
	v_mul_lo_u32 v11, s21, v2
	v_mad_u64_u32 v[7:8], null, s20, v2, 0
	v_mul_lo_u32 v12, s20, v9
	s_delay_alu instid0(VALU_DEP_2) | instskip(NEXT) | instid1(VALU_DEP_2)
	v_sub_co_u32 v7, vcc_lo, v5, v7
	v_add3_u32 v8, v8, v12, v11
	s_delay_alu instid0(VALU_DEP_1) | instskip(NEXT) | instid1(VALU_DEP_1)
	v_sub_nc_u32_e32 v11, v6, v8
	v_subrev_co_ci_u32_e64 v11, s2, s21, v11, vcc_lo
	v_add_co_u32 v12, s2, v2, 2
	s_delay_alu instid0(VALU_DEP_1) | instskip(SKIP_3) | instid1(VALU_DEP_3)
	v_add_co_ci_u32_e64 v13, s2, 0, v9, s2
	v_sub_co_u32 v14, s2, v7, s20
	v_sub_co_ci_u32_e32 v8, vcc_lo, v6, v8, vcc_lo
	v_subrev_co_ci_u32_e64 v11, s2, 0, v11, s2
	v_cmp_le_u32_e32 vcc_lo, s20, v14
	s_delay_alu instid0(VALU_DEP_3) | instskip(SKIP_1) | instid1(VALU_DEP_4)
	v_cmp_eq_u32_e64 s2, s21, v8
	v_cndmask_b32_e64 v14, 0, -1, vcc_lo
	v_cmp_le_u32_e32 vcc_lo, s21, v11
	v_cndmask_b32_e64 v15, 0, -1, vcc_lo
	v_cmp_le_u32_e32 vcc_lo, s20, v7
	;; [unrolled: 2-line block ×3, first 2 shown]
	v_cndmask_b32_e64 v16, 0, -1, vcc_lo
	v_cmp_eq_u32_e32 vcc_lo, s21, v11
	s_delay_alu instid0(VALU_DEP_2) | instskip(SKIP_3) | instid1(VALU_DEP_3)
	v_cndmask_b32_e64 v7, v16, v7, s2
	v_cndmask_b32_e32 v11, v15, v14, vcc_lo
	v_add_co_u32 v14, vcc_lo, v2, 1
	v_add_co_ci_u32_e32 v15, vcc_lo, 0, v9, vcc_lo
	v_cmp_ne_u32_e32 vcc_lo, 0, v11
	s_delay_alu instid0(VALU_DEP_2) | instskip(SKIP_1) | instid1(VALU_DEP_2)
	v_dual_cndmask_b32 v8, v15, v13 :: v_dual_cndmask_b32 v11, v14, v12
	v_cmp_ne_u32_e32 vcc_lo, 0, v7
	v_dual_cndmask_b32 v7, v2, v11 :: v_dual_cndmask_b32 v8, v9, v8
.LBB0_4:                                ;   in Loop: Header=BB0_2 Depth=1
	s_and_not1_saveexec_b32 s2, s3
	s_cbranch_execz .LBB0_6
; %bb.5:                                ;   in Loop: Header=BB0_2 Depth=1
	v_cvt_f32_u32_e32 v2, s20
	s_sub_i32 s3, 0, s20
	s_delay_alu instid0(VALU_DEP_1) | instskip(SKIP_2) | instid1(VALU_DEP_1)
	v_rcp_iflag_f32_e32 v2, v2
	s_waitcnt_depctr 0xfff
	v_mul_f32_e32 v2, 0x4f7ffffe, v2
	v_cvt_u32_f32_e32 v2, v2
	s_delay_alu instid0(VALU_DEP_1) | instskip(NEXT) | instid1(VALU_DEP_1)
	v_mul_lo_u32 v7, s3, v2
	v_mul_hi_u32 v7, v2, v7
	s_delay_alu instid0(VALU_DEP_1) | instskip(NEXT) | instid1(VALU_DEP_1)
	v_add_nc_u32_e32 v2, v2, v7
	v_mul_hi_u32 v2, v5, v2
	s_delay_alu instid0(VALU_DEP_1) | instskip(SKIP_1) | instid1(VALU_DEP_2)
	v_mul_lo_u32 v7, v2, s20
	v_add_nc_u32_e32 v8, 1, v2
	v_sub_nc_u32_e32 v7, v5, v7
	s_delay_alu instid0(VALU_DEP_1) | instskip(SKIP_1) | instid1(VALU_DEP_2)
	v_subrev_nc_u32_e32 v9, s20, v7
	v_cmp_le_u32_e32 vcc_lo, s20, v7
	v_dual_cndmask_b32 v7, v7, v9 :: v_dual_cndmask_b32 v2, v2, v8
	s_delay_alu instid0(VALU_DEP_1) | instskip(NEXT) | instid1(VALU_DEP_2)
	v_cmp_le_u32_e32 vcc_lo, s20, v7
	v_add_nc_u32_e32 v8, 1, v2
	s_delay_alu instid0(VALU_DEP_1)
	v_dual_cndmask_b32 v7, v2, v8 :: v_dual_mov_b32 v8, v1
.LBB0_6:                                ;   in Loop: Header=BB0_2 Depth=1
	s_or_b32 exec_lo, exec_lo, s2
	s_load_b64 s[2:3], s[14:15], 0x0
	s_delay_alu instid0(VALU_DEP_1) | instskip(NEXT) | instid1(VALU_DEP_2)
	v_mul_lo_u32 v2, v8, s20
	v_mul_lo_u32 v9, v7, s21
	v_mad_u64_u32 v[11:12], null, v7, s20, 0
	s_add_u32 s18, s18, 1
	s_addc_u32 s19, s19, 0
	s_add_u32 s14, s14, 8
	s_addc_u32 s15, s15, 0
	;; [unrolled: 2-line block ×3, first 2 shown]
	s_delay_alu instid0(VALU_DEP_1) | instskip(SKIP_1) | instid1(VALU_DEP_2)
	v_add3_u32 v2, v12, v9, v2
	v_sub_co_u32 v9, vcc_lo, v5, v11
	v_sub_co_ci_u32_e32 v2, vcc_lo, v6, v2, vcc_lo
	s_waitcnt lgkmcnt(0)
	s_delay_alu instid0(VALU_DEP_2) | instskip(NEXT) | instid1(VALU_DEP_2)
	v_mul_lo_u32 v11, s3, v9
	v_mul_lo_u32 v2, s2, v2
	v_mad_u64_u32 v[5:6], null, s2, v9, v[3:4]
	v_cmp_ge_u64_e64 s2, s[18:19], s[6:7]
	s_delay_alu instid0(VALU_DEP_1) | instskip(NEXT) | instid1(VALU_DEP_2)
	s_and_b32 vcc_lo, exec_lo, s2
	v_add3_u32 v4, v11, v6, v2
	s_delay_alu instid0(VALU_DEP_3)
	v_mov_b32_e32 v3, v5
	s_cbranch_vccnz .LBB0_9
; %bb.7:                                ;   in Loop: Header=BB0_2 Depth=1
	v_dual_mov_b32 v5, v7 :: v_dual_mov_b32 v6, v8
	s_branch .LBB0_2
.LBB0_8:
	v_dual_mov_b32 v8, v6 :: v_dual_mov_b32 v7, v5
.LBB0_9:
	s_lshl_b64 s[2:3], s[6:7], 3
	v_and_b32_e32 v28, 15, v0
	s_add_u32 s2, s12, s2
	s_addc_u32 s3, s13, s3
                                        ; implicit-def: $vgpr6
                                        ; implicit-def: $vgpr9
                                        ; implicit-def: $vgpr11
                                        ; implicit-def: $vgpr13
	s_load_b64 s[2:3], s[2:3], 0x0
	s_load_b64 s[0:1], s[0:1], 0x20
	v_or_b32_e32 v25, 16, v28
	v_or_b32_e32 v23, 0x50, v28
	;; [unrolled: 1-line block ×9, first 2 shown]
	s_waitcnt lgkmcnt(0)
	v_mul_lo_u32 v2, s2, v8
	v_mul_lo_u32 v5, s3, v7
	v_mad_u64_u32 v[0:1], null, s2, v7, v[3:4]
	v_cmp_gt_u64_e32 vcc_lo, s[0:1], v[7:8]
	v_cmp_le_u64_e64 s0, s[0:1], v[7:8]
                                        ; implicit-def: $vgpr7
                                        ; implicit-def: $vgpr3
                                        ; implicit-def: $vgpr4
	s_delay_alu instid0(VALU_DEP_3) | instskip(NEXT) | instid1(VALU_DEP_2)
	v_add3_u32 v1, v5, v1, v2
                                        ; implicit-def: $vgpr2
                                        ; implicit-def: $vgpr5
	s_and_saveexec_b32 s1, s0
	s_delay_alu instid0(SALU_CYCLE_1)
	s_xor_b32 s0, exec_lo, s1
; %bb.10:
	v_or_b32_e32 v2, 16, v28
	v_or_b32_e32 v6, 0x50, v28
	;; [unrolled: 1-line block ×9, first 2 shown]
; %bb.11:
	s_or_saveexec_b32 s1, s0
	v_lshlrev_b64 v[0:1], 2, v[0:1]
	v_or_b32_e32 v34, 0xa0, v28
	v_or_b32_e32 v32, 0xc0, v28
	;; [unrolled: 1-line block ×10, first 2 shown]
                                        ; implicit-def: $vgpr57
                                        ; implicit-def: $vgpr36
                                        ; implicit-def: $vgpr61
                                        ; implicit-def: $vgpr37
                                        ; implicit-def: $vgpr67
                                        ; implicit-def: $vgpr60
                                        ; implicit-def: $vgpr66
                                        ; implicit-def: $vgpr46
                                        ; implicit-def: $vgpr68
                                        ; implicit-def: $vgpr58
                                        ; implicit-def: $vgpr63
                                        ; implicit-def: $vgpr47
                                        ; implicit-def: $vgpr69
                                        ; implicit-def: $vgpr59
                                        ; implicit-def: $vgpr64
                                        ; implicit-def: $vgpr48
                                        ; implicit-def: $vgpr70
                                        ; implicit-def: $vgpr71
                                        ; implicit-def: $vgpr62
                                        ; implicit-def: $vgpr65
                                        ; implicit-def: $vgpr14
                                        ; implicit-def: $vgpr12
                                        ; implicit-def: $vgpr15
                                        ; implicit-def: $vgpr8
                                        ; implicit-def: $vgpr51
                                        ; implicit-def: $vgpr52
                                        ; implicit-def: $vgpr44
                                        ; implicit-def: $vgpr38
                                        ; implicit-def: $vgpr53
                                        ; implicit-def: $vgpr49
                                        ; implicit-def: $vgpr42
                                        ; implicit-def: $vgpr39
                                        ; implicit-def: $vgpr54
                                        ; implicit-def: $vgpr50
                                        ; implicit-def: $vgpr43
                                        ; implicit-def: $vgpr41
                                        ; implicit-def: $vgpr55
                                        ; implicit-def: $vgpr56
                                        ; implicit-def: $vgpr40
                                        ; implicit-def: $vgpr45
	s_xor_b32 exec_lo, exec_lo, s1
	s_cbranch_execz .LBB0_13
; %bb.12:
	v_mad_u64_u32 v[2:3], null, s8, v28, 0
	v_mad_u64_u32 v[4:5], null, s8, v27, 0
	;; [unrolled: 1-line block ×4, first 2 shown]
	v_add_co_u32 v65, s0, s10, v0
	s_delay_alu instid0(VALU_DEP_4) | instskip(NEXT) | instid1(VALU_DEP_4)
	v_mad_u64_u32 v[8:9], null, s9, v28, v[3:4]
	v_mov_b32_e32 v3, v7
	v_mad_u64_u32 v[13:14], null, s9, v27, v[5:6]
	v_add_co_ci_u32_e64 v66, s0, s11, v1, s0
	s_delay_alu instid0(VALU_DEP_3)
	v_mad_u64_u32 v[14:15], null, s9, v24, v[3:4]
	v_mov_b32_e32 v3, v8
	v_mad_u64_u32 v[8:9], null, s8, v17, 0
	v_mov_b32_e32 v5, v13
	;; [unrolled: 2-line block ×3, first 2 shown]
	v_mad_u64_u32 v[13:14], null, s9, v22, v[12:13]
	v_mad_u64_u32 v[14:15], null, s8, v34, 0
	;; [unrolled: 1-line block ×4, first 2 shown]
	s_delay_alu instid0(VALU_DEP_4)
	v_mov_b32_e32 v12, v13
	v_lshlrev_b64 v[2:3], 2, v[2:3]
	v_mov_b32_e32 v13, v15
	v_lshlrev_b64 v[4:5], 2, v[4:5]
	v_lshlrev_b64 v[6:7], 2, v[6:7]
	v_mov_b32_e32 v9, v36
	v_lshlrev_b64 v[11:12], 2, v[11:12]
	v_mad_u64_u32 v[39:40], null, s9, v34, v[13:14]
	v_mad_u64_u32 v[40:41], null, s8, v30, 0
	v_mov_b32_e32 v13, v38
	v_add_co_u32 v2, s0, v65, v2
	s_delay_alu instid0(VALU_DEP_1) | instskip(SKIP_1) | instid1(VALU_DEP_4)
	v_add_co_ci_u32_e64 v3, s0, v66, v3, s0
	v_mov_b32_e32 v15, v39
	v_mad_u64_u32 v[38:39], null, s9, v32, v[13:14]
	v_add_co_u32 v4, s0, v65, v4
	s_delay_alu instid0(VALU_DEP_3)
	v_lshlrev_b64 v[14:15], 2, v[14:15]
	v_mov_b32_e32 v13, v41
	v_add_co_ci_u32_e64 v5, s0, v66, v5, s0
	v_add_co_u32 v6, s0, v65, v6
	v_lshlrev_b64 v[8:9], 2, v[8:9]
	v_add_co_ci_u32_e64 v7, s0, v66, v7, s0
	v_mad_u64_u32 v[41:42], null, s9, v30, v[13:14]
	v_add_co_u32 v11, s0, v65, v11
	v_mad_u64_u32 v[42:43], null, s8, v29, 0
	v_add_co_ci_u32_e64 v12, s0, v66, v12, s0
	v_add_co_u32 v8, s0, v65, v8
	s_delay_alu instid0(VALU_DEP_1) | instskip(SKIP_3) | instid1(VALU_DEP_1)
	v_add_co_ci_u32_e64 v9, s0, v66, v9, s0
	v_lshlrev_b64 v[36:37], 2, v[37:38]
	v_mad_u64_u32 v[38:39], null, s8, v19, 0
	v_add_co_u32 v13, s0, v65, v14
	v_add_co_ci_u32_e64 v14, s0, v66, v15, s0
	v_mov_b32_e32 v15, v43
	v_lshlrev_b64 v[40:41], 2, v[40:41]
	v_mad_u64_u32 v[52:53], null, s8, v31, 0
	s_delay_alu instid0(VALU_DEP_3) | instskip(SKIP_2) | instid1(VALU_DEP_1)
	v_mad_u64_u32 v[43:44], null, s9, v29, v[15:16]
	v_mov_b32_e32 v15, v39
	v_add_co_u32 v44, s0, v65, v36
	v_add_co_ci_u32_e64 v45, s0, v66, v37, s0
	s_delay_alu instid0(VALU_DEP_3) | instskip(SKIP_2) | instid1(VALU_DEP_1)
	v_mad_u64_u32 v[49:50], null, s9, v19, v[15:16]
	v_mad_u64_u32 v[50:51], null, s8, v25, 0
	v_add_co_u32 v39, s0, v65, v40
	v_add_co_ci_u32_e64 v40, s0, v66, v41, s0
	s_clause 0x7
	global_load_b32 v36, v[2:3], off
	global_load_b32 v37, v[4:5], off
	global_load_b32 v60, v[6:7], off
	global_load_b32 v46, v[11:12], off
	global_load_b32 v58, v[8:9], off
	global_load_b32 v47, v[13:14], off
	global_load_b32 v59, v[44:45], off
	global_load_b32 v48, v[39:40], off
	v_mad_u64_u32 v[5:6], null, s8, v26, 0
	v_dual_mov_b32 v4, v51 :: v_dual_mov_b32 v39, v49
	v_mad_u64_u32 v[11:12], null, s8, v23, 0
	v_lshlrev_b64 v[2:3], 2, v[42:43]
	v_mad_u64_u32 v[40:41], null, s8, v16, 0
	s_delay_alu instid0(VALU_DEP_4) | instskip(SKIP_4) | instid1(VALU_DEP_4)
	v_mad_u64_u32 v[7:8], null, s9, v25, v[4:5]
	v_mov_b32_e32 v4, v6
	v_lshlrev_b64 v[8:9], 2, v[38:39]
	v_mad_u64_u32 v[38:39], null, s8, v21, 0
	v_add_co_u32 v2, s0, v65, v2
	v_mad_u64_u32 v[13:14], null, s9, v26, v[4:5]
	v_mov_b32_e32 v4, v12
	v_add_co_ci_u32_e64 v3, s0, v66, v3, s0
	v_mov_b32_e32 v51, v7
	v_add_co_u32 v7, s0, v65, v8
	v_mov_b32_e32 v6, v13
	v_mad_u64_u32 v[12:13], null, s9, v23, v[4:5]
	s_delay_alu instid0(VALU_DEP_4) | instskip(SKIP_1) | instid1(VALU_DEP_4)
	v_lshlrev_b64 v[14:15], 2, v[50:51]
	v_add_co_ci_u32_e64 v8, s0, v66, v9, s0
	v_lshlrev_b64 v[4:5], 2, v[5:6]
	v_dual_mov_b32 v6, v39 :: v_dual_mov_b32 v9, v53
	s_delay_alu instid0(VALU_DEP_4) | instskip(SKIP_1) | instid1(VALU_DEP_3)
	v_add_co_u32 v13, s0, v65, v14
	v_lshlrev_b64 v[11:12], 2, v[11:12]
	v_mad_u64_u32 v[42:43], null, s9, v21, v[6:7]
	v_mov_b32_e32 v6, v41
	v_add_co_ci_u32_e64 v14, s0, v66, v15, s0
	v_add_co_u32 v4, s0, v65, v4
	v_mad_u64_u32 v[43:44], null, s8, v35, 0
	v_mov_b32_e32 v39, v42
	v_add_co_ci_u32_e64 v5, s0, v66, v5, s0
	v_mad_u64_u32 v[49:50], null, s9, v16, v[6:7]
	v_add_co_u32 v50, s0, v65, v11
	s_delay_alu instid0(VALU_DEP_1) | instskip(SKIP_4) | instid1(VALU_DEP_4)
	v_add_co_ci_u32_e64 v51, s0, v66, v12, s0
	v_lshlrev_b64 v[11:12], 2, v[38:39]
	v_mad_u64_u32 v[38:39], null, s8, v33, 0
	v_dual_mov_b32 v6, v44 :: v_dual_mov_b32 v41, v49
	v_mad_u64_u32 v[56:57], null, s9, v31, v[9:10]
	v_add_co_u32 v54, s0, v65, v11
	s_delay_alu instid0(VALU_DEP_3) | instskip(SKIP_4) | instid1(VALU_DEP_4)
	v_mad_u64_u32 v[44:45], null, s9, v35, v[6:7]
	v_mov_b32_e32 v6, v39
	v_add_co_ci_u32_e64 v55, s0, v66, v12, s0
	v_lshlrev_b64 v[11:12], 2, v[40:41]
	v_mov_b32_e32 v53, v56
	v_mad_u64_u32 v[39:40], null, s9, v33, v[6:7]
	v_mad_u64_u32 v[40:41], null, s8, v20, 0
	s_delay_alu instid0(VALU_DEP_4) | instskip(NEXT) | instid1(VALU_DEP_1)
	v_add_co_u32 v63, s0, v65, v11
	v_add_co_ci_u32_e64 v64, s0, v66, v12, s0
	v_lshlrev_b64 v[11:12], 2, v[43:44]
	v_lshlrev_b64 v[44:45], 2, v[52:53]
	v_mov_b32_e32 v6, v41
	v_mov_b32_e32 v9, v21
	s_delay_alu instid0(VALU_DEP_2) | instskip(SKIP_2) | instid1(VALU_DEP_1)
	v_mad_u64_u32 v[41:42], null, s9, v20, v[6:7]
	v_mov_b32_e32 v6, v62
	v_add_co_u32 v42, s0, v65, v11
	v_add_co_ci_u32_e64 v43, s0, v66, v12, s0
	v_lshlrev_b64 v[11:12], 2, v[38:39]
	s_delay_alu instid0(VALU_DEP_4) | instskip(SKIP_1) | instid1(VALU_DEP_3)
	v_mad_u64_u32 v[38:39], null, s9, v18, v[6:7]
	v_mov_b32_e32 v6, v23
	v_add_co_u32 v56, s0, v65, v11
	s_delay_alu instid0(VALU_DEP_1) | instskip(NEXT) | instid1(VALU_DEP_4)
	v_add_co_ci_u32_e64 v57, s0, v66, v12, s0
	v_mov_b32_e32 v62, v38
	v_lshlrev_b64 v[11:12], 2, v[40:41]
	v_add_co_u32 v40, s0, v65, v44
	s_delay_alu instid0(VALU_DEP_1) | instskip(NEXT) | instid1(VALU_DEP_4)
	v_add_co_ci_u32_e64 v41, s0, v66, v45, s0
	v_lshlrev_b64 v[38:39], 2, v[61:62]
	s_delay_alu instid0(VALU_DEP_4) | instskip(NEXT) | instid1(VALU_DEP_1)
	v_add_co_u32 v44, s0, v65, v11
	v_add_co_ci_u32_e64 v45, s0, v66, v12, s0
	v_mov_b32_e32 v11, v17
	s_delay_alu instid0(VALU_DEP_4) | instskip(NEXT) | instid1(VALU_DEP_1)
	v_add_co_u32 v61, s0, v65, v38
	v_add_co_ci_u32_e64 v62, s0, v66, v39, s0
	s_clause 0xb
	global_load_b32 v71, v[2:3], off
	global_load_b32 v65, v[7:8], off
	;; [unrolled: 1-line block ×12, first 2 shown]
	v_dual_mov_b32 v2, v25 :: v_dual_mov_b32 v13, v16
	v_dual_mov_b32 v5, v24 :: v_dual_mov_b32 v4, v26
	v_mov_b32_e32 v3, v27
	v_mov_b32_e32 v7, v22
	s_waitcnt vmcnt(19)
	v_lshrrev_b32_e32 v57, 16, v36
	s_waitcnt vmcnt(18)
	v_lshrrev_b32_e32 v61, 16, v37
	;; [unrolled: 2-line block ×20, first 2 shown]
.LBB0_13:
	s_or_b32 exec_lo, exec_lo, s1
	v_add_f16_e32 v72, v58, v59
	v_add_f16_e32 v73, v36, v60
	v_sub_f16_e32 v74, v67, v70
	v_add_f16_e32 v78, v60, v71
	v_sub_f16_e32 v75, v68, v69
	v_fma_f16 v72, -0.5, v72, v36
	v_add_f16_e32 v73, v73, v58
	v_add_f16_e32 v81, v57, v67
	v_fmac_f16_e32 v36, -0.5, v78
	v_sub_f16_e32 v76, v60, v58
	v_fmamk_f16 v79, v74, 0xbb9c, v72
	v_fmac_f16_e32 v72, 0x3b9c, v74
	v_sub_f16_e32 v77, v71, v59
	v_add_f16_e32 v73, v73, v59
	v_fmamk_f16 v78, v75, 0x3b9c, v36
	v_fmac_f16_e32 v79, 0xb8b4, v75
	v_fmac_f16_e32 v72, 0x38b4, v75
	;; [unrolled: 1-line block ×3, first 2 shown]
	v_add_f16_e32 v75, v81, v68
	v_sub_f16_e32 v80, v58, v60
	v_add_f16_e32 v76, v76, v77
	v_sub_f16_e32 v77, v59, v71
	v_add_f16_e32 v73, v73, v71
	v_add_f16_e32 v82, v68, v69
	v_sub_f16_e32 v60, v60, v71
	v_add_f16_e32 v71, v75, v69
	v_add_f16_e32 v75, v67, v70
	;; [unrolled: 1-line block ×3, first 2 shown]
	v_fma_f16 v80, -0.5, v82, v57
	v_sub_f16_e32 v58, v58, v59
	v_fmac_f16_e32 v79, 0x34f2, v76
	v_fmac_f16_e32 v57, -0.5, v75
	v_fmac_f16_e32 v78, 0xb8b4, v74
	v_fmac_f16_e32 v72, 0x34f2, v76
	;; [unrolled: 1-line block ×3, first 2 shown]
	v_fmamk_f16 v74, v60, 0x3b9c, v80
	v_sub_f16_e32 v59, v67, v68
	v_sub_f16_e32 v76, v70, v69
	v_fmac_f16_e32 v80, 0xbb9c, v60
	v_fmamk_f16 v75, v58, 0xbb9c, v57
	v_sub_f16_e32 v67, v68, v67
	v_sub_f16_e32 v68, v69, v70
	v_fmac_f16_e32 v57, 0x3b9c, v58
	v_fmac_f16_e32 v74, 0x38b4, v58
	v_add_f16_e32 v59, v59, v76
	v_fmac_f16_e32 v80, 0xb8b4, v58
	v_fmac_f16_e32 v75, 0x38b4, v60
	v_add_f16_e32 v67, v67, v68
	v_add_f16_e32 v68, v47, v48
	v_fmac_f16_e32 v57, 0xb8b4, v60
	v_add_f16_e32 v60, v46, v65
	v_fmac_f16_e32 v74, 0x34f2, v59
	;; [unrolled: 2-line block ×3, first 2 shown]
	v_fmac_f16_e32 v75, 0x34f2, v67
	v_fma_f16 v59, -0.5, v68, v37
	v_sub_f16_e32 v68, v66, v62
	v_fmac_f16_e32 v57, 0x34f2, v67
	v_sub_f16_e32 v67, v63, v64
	v_fmac_f16_e32 v37, -0.5, v60
	v_add_f16_e32 v58, v69, v47
	v_fmamk_f16 v60, v68, 0xbb9c, v59
	v_fmac_f16_e32 v59, 0x3b9c, v68
	v_fmac_f16_e32 v78, 0x34f2, v77
	v_fmamk_f16 v76, v67, 0x3b9c, v37
	v_fmac_f16_e32 v37, 0xbb9c, v67
	v_fmac_f16_e32 v36, 0x34f2, v77
	v_add_f16_e32 v71, v71, v70
	v_add_f16_e32 v58, v58, v48
	v_sub_f16_e32 v69, v46, v47
	v_sub_f16_e32 v70, v65, v48
	;; [unrolled: 1-line block ×4, first 2 shown]
	v_fmac_f16_e32 v60, 0xb8b4, v67
	v_fmac_f16_e32 v59, 0x38b4, v67
	;; [unrolled: 1-line block ×3, first 2 shown]
	v_add_f16_e32 v67, v63, v64
	v_fmac_f16_e32 v37, 0x38b4, v68
	v_add_f16_e32 v68, v66, v62
	v_add_f16_e32 v58, v58, v65
	;; [unrolled: 1-line block ×4, first 2 shown]
	v_fma_f16 v67, -0.5, v67, v61
	v_sub_f16_e32 v46, v46, v65
	v_add_f16_e32 v65, v61, v66
	v_sub_f16_e32 v47, v47, v48
	v_fmac_f16_e32 v61, -0.5, v68
	v_fmac_f16_e32 v76, 0x34f2, v70
	v_fmac_f16_e32 v37, 0x34f2, v70
	v_sub_f16_e32 v68, v66, v63
	v_sub_f16_e32 v66, v63, v66
	v_fmamk_f16 v70, v47, 0xbb9c, v61
	v_sub_f16_e32 v77, v64, v62
	v_fmac_f16_e32 v60, 0x34f2, v69
	v_fmac_f16_e32 v59, 0x34f2, v69
	v_fmamk_f16 v48, v46, 0x3b9c, v67
	v_sub_f16_e32 v69, v62, v64
	v_fmac_f16_e32 v61, 0x3b9c, v47
	v_fmac_f16_e32 v70, 0x38b4, v46
	v_add_f16_e32 v66, v66, v77
	v_fmac_f16_e32 v48, 0x38b4, v47
	v_add_f16_e32 v68, v68, v69
	v_fmac_f16_e32 v61, 0xb8b4, v46
	v_fmac_f16_e32 v67, 0xbb9c, v46
	;; [unrolled: 1-line block ×3, first 2 shown]
	v_add_f16_e32 v46, v65, v63
	v_fmac_f16_e32 v48, 0x34f2, v68
	v_fmac_f16_e32 v61, 0x34f2, v66
	;; [unrolled: 1-line block ×3, first 2 shown]
	v_mul_f16_e32 v63, 0xbb9c, v70
	v_add_f16_e32 v46, v46, v64
	v_mul_f16_e32 v47, 0xb8b4, v48
	v_mul_f16_e32 v64, 0xbb9c, v61
	v_fmac_f16_e32 v67, 0x34f2, v68
	v_fmac_f16_e32 v63, 0x34f2, v76
	v_mul_f16_e32 v48, 0x3a79, v48
	v_mul_f16_e32 v76, 0x3b9c, v76
	;; [unrolled: 1-line block ×3, first 2 shown]
	v_add_f16_e32 v46, v46, v62
	v_fmac_f16_e32 v64, 0xb4f2, v37
	v_mul_f16_e32 v62, 0xb8b4, v67
	v_add_f16_e32 v65, v73, v58
	v_add_f16_e32 v68, v78, v63
	v_fmac_f16_e32 v48, 0x38b4, v60
	v_fmac_f16_e32 v76, 0x34f2, v70
	;; [unrolled: 1-line block ×3, first 2 shown]
	v_sub_f16_e32 v37, v73, v58
	v_add_f16_e32 v58, v49, v50
	v_sub_f16_e32 v63, v78, v63
	v_add_f16_e32 v78, v52, v56
	v_fmac_f16_e32 v47, 0x3a79, v60
	v_add_f16_e32 v69, v36, v64
	v_fmac_f16_e32 v62, 0xba79, v59
	v_mul_f16_e32 v67, 0xba79, v67
	v_add_f16_e32 v60, v74, v48
	v_add_f16_e32 v70, v75, v76
	v_sub_f16_e32 v36, v36, v64
	v_add_f16_e32 v64, v12, v52
	v_fma_f16 v58, -0.5, v58, v12
	v_sub_f16_e32 v48, v74, v48
	v_sub_f16_e32 v73, v75, v76
	;; [unrolled: 1-line block ×5, first 2 shown]
	v_fmac_f16_e32 v12, -0.5, v78
	v_add_f16_e32 v77, v72, v62
	v_fmac_f16_e32 v67, 0x38b4, v59
	v_add_f16_e32 v81, v57, v61
	v_sub_f16_e32 v62, v72, v62
	v_sub_f16_e32 v72, v51, v55
	;; [unrolled: 1-line block ×3, first 2 shown]
	v_add_f16_e32 v61, v75, v76
	v_fmamk_f16 v75, v74, 0x3b9c, v12
	v_fmac_f16_e32 v12, 0xbb9c, v74
	v_add_f16_e32 v66, v79, v47
	v_add_f16_e32 v59, v71, v46
	v_add_f16_e32 v82, v80, v67
	v_sub_f16_e32 v47, v79, v47
	v_sub_f16_e32 v71, v71, v46
	v_add_f16_e32 v46, v64, v49
	v_fmamk_f16 v64, v72, 0xbb9c, v58
	v_sub_f16_e32 v67, v80, v67
	v_fmac_f16_e32 v58, 0x3b9c, v72
	v_sub_f16_e32 v76, v49, v52
	v_sub_f16_e32 v78, v50, v56
	v_add_f16_e32 v79, v14, v51
	v_add_f16_e32 v80, v53, v54
	v_fmac_f16_e32 v75, 0xb8b4, v72
	v_fmac_f16_e32 v12, 0x38b4, v72
	v_add_f16_e32 v72, v51, v55
	v_add_f16_e32 v46, v46, v50
	v_fmac_f16_e32 v64, 0xb8b4, v74
	v_fmac_f16_e32 v58, 0x38b4, v74
	v_add_f16_e32 v76, v76, v78
	v_add_f16_e32 v74, v79, v53
	v_fma_f16 v78, -0.5, v80, v14
	v_sub_f16_e32 v52, v52, v56
	v_sub_f16_e32 v49, v49, v50
	v_fmac_f16_e32 v14, -0.5, v72
	v_add_f16_e32 v46, v46, v56
	v_fmac_f16_e32 v64, 0x34f2, v61
	v_fmac_f16_e32 v58, 0x34f2, v61
	v_add_f16_e32 v56, v74, v54
	v_fmamk_f16 v61, v52, 0x3b9c, v78
	v_sub_f16_e32 v50, v51, v53
	v_sub_f16_e32 v74, v55, v54
	v_fmac_f16_e32 v78, 0xbb9c, v52
	v_fmamk_f16 v72, v49, 0xbb9c, v14
	v_sub_f16_e32 v51, v53, v51
	v_sub_f16_e32 v53, v54, v55
	v_fmac_f16_e32 v14, 0x3b9c, v49
	v_fmac_f16_e32 v61, 0x38b4, v49
	v_add_f16_e32 v50, v50, v74
	v_fmac_f16_e32 v78, 0xb8b4, v49
	v_fmac_f16_e32 v72, 0x38b4, v52
	v_add_f16_e32 v51, v51, v53
	v_add_f16_e32 v53, v39, v41
	v_fmac_f16_e32 v14, 0xb8b4, v52
	v_add_f16_e32 v52, v38, v45
	v_fmac_f16_e32 v61, 0x34f2, v50
	;; [unrolled: 2-line block ×3, first 2 shown]
	v_fmac_f16_e32 v72, 0x34f2, v51
	v_fma_f16 v50, -0.5, v53, v8
	v_sub_f16_e32 v53, v44, v40
	v_fmac_f16_e32 v14, 0x34f2, v51
	v_sub_f16_e32 v51, v42, v43
	v_fmac_f16_e32 v8, -0.5, v52
	v_add_f16_e32 v49, v54, v39
	v_fmamk_f16 v52, v53, 0xbb9c, v50
	v_fmac_f16_e32 v50, 0x3b9c, v53
	v_fmac_f16_e32 v75, 0x34f2, v76
	v_fmamk_f16 v74, v51, 0x3b9c, v8
	v_fmac_f16_e32 v8, 0xbb9c, v51
	v_fmac_f16_e32 v12, 0x34f2, v76
	v_add_f16_e32 v56, v56, v55
	v_add_f16_e32 v49, v49, v41
	v_sub_f16_e32 v54, v38, v39
	v_sub_f16_e32 v55, v45, v41
	;; [unrolled: 1-line block ×4, first 2 shown]
	v_fmac_f16_e32 v52, 0xb8b4, v51
	v_fmac_f16_e32 v50, 0x38b4, v51
	;; [unrolled: 1-line block ×3, first 2 shown]
	v_add_f16_e32 v51, v42, v43
	v_fmac_f16_e32 v8, 0x38b4, v53
	v_add_f16_e32 v53, v44, v40
	v_add_f16_e32 v49, v49, v45
	;; [unrolled: 1-line block ×4, first 2 shown]
	v_fma_f16 v51, -0.5, v51, v15
	v_sub_f16_e32 v38, v38, v45
	v_add_f16_e32 v45, v15, v44
	v_sub_f16_e32 v39, v39, v41
	v_fmac_f16_e32 v15, -0.5, v53
	v_fmac_f16_e32 v74, 0x34f2, v55
	v_fmac_f16_e32 v8, 0x34f2, v55
	v_sub_f16_e32 v53, v44, v42
	v_sub_f16_e32 v44, v42, v44
	v_fmamk_f16 v55, v39, 0xbb9c, v15
	v_sub_f16_e32 v76, v43, v40
	v_fmac_f16_e32 v15, 0x3b9c, v39
	v_fmac_f16_e32 v52, 0x34f2, v54
	;; [unrolled: 1-line block ×3, first 2 shown]
	v_fmamk_f16 v41, v38, 0x3b9c, v51
	v_sub_f16_e32 v54, v40, v43
	v_add_f16_e32 v44, v44, v76
	v_fmac_f16_e32 v15, 0xb8b4, v38
	v_fmac_f16_e32 v51, 0xbb9c, v38
	;; [unrolled: 1-line block ×3, first 2 shown]
	v_add_f16_e32 v53, v53, v54
	v_fmac_f16_e32 v55, 0x38b4, v38
	v_add_f16_e32 v38, v45, v42
	v_fmac_f16_e32 v15, 0x34f2, v44
	v_fmac_f16_e32 v51, 0xb8b4, v39
	v_mul_u32_u24_e32 v10, 0x140, v10
	v_fmac_f16_e32 v41, 0x34f2, v53
	v_fmac_f16_e32 v55, 0x34f2, v44
	v_add_f16_e32 v38, v38, v43
	v_mul_f16_e32 v43, 0xbb9c, v15
	v_fmac_f16_e32 v51, 0x34f2, v53
	v_mul_f16_e32 v15, 0xb4f2, v15
	v_mul_f16_e32 v39, 0xb8b4, v41
	;; [unrolled: 1-line block ×3, first 2 shown]
	v_add_f16_e32 v38, v38, v40
	v_fmac_f16_e32 v43, 0xb4f2, v8
	v_mul_f16_e32 v40, 0xb8b4, v51
	v_mul_f16_e32 v41, 0x3a79, v41
	;; [unrolled: 1-line block ×3, first 2 shown]
	v_fmac_f16_e32 v15, 0x3b9c, v8
	v_lshlrev_b32_e32 v8, 1, v10
	v_fmac_f16_e32 v39, 0x3a79, v52
	v_fmac_f16_e32 v42, 0x34f2, v74
	v_add_f16_e32 v44, v46, v49
	v_fmac_f16_e32 v40, 0xba79, v50
	v_mul_f16_e32 v74, 0x3b9c, v74
	v_fmac_f16_e32 v41, 0x38b4, v52
	v_fmac_f16_e32 v51, 0x38b4, v50
	v_add_f16_e32 v52, v56, v38
	v_sub_f16_e32 v46, v46, v49
	v_sub_f16_e32 v49, v56, v38
	v_mul_u32_u24_e32 v38, 10, v28
	v_add_nc_u32_e32 v50, 0, v8
	v_add_f16_e32 v45, v64, v39
	v_add_f16_e32 v53, v75, v42
	;; [unrolled: 1-line block ×3, first 2 shown]
	v_fmac_f16_e32 v74, 0x34f2, v55
	v_add_f16_e32 v55, v61, v41
	v_add_f16_e32 v80, v14, v15
	v_sub_f16_e32 v10, v12, v43
	v_sub_f16_e32 v12, v58, v40
	;; [unrolled: 1-line block ×4, first 2 shown]
	v_lshl_add_u32 v14, v38, 1, v50
	v_mul_i32_i24_e32 v38, 10, v2
	v_add_f16_e32 v76, v58, v40
	v_sub_f16_e32 v39, v64, v39
	v_sub_f16_e32 v42, v75, v42
	v_pack_b32_f16 v15, v68, v69
	v_pack_b32_f16 v40, v65, v66
	;; [unrolled: 1-line block ×3, first 2 shown]
	v_lshl_add_u32 v62, v38, 1, v50
	v_pack_b32_f16 v38, v53, v54
	v_pack_b32_f16 v43, v44, v45
	;; [unrolled: 1-line block ×3, first 2 shown]
	v_lshlrev_b32_e32 v12, 1, v28
	v_add_nc_u32_e32 v54, -10, v28
	v_cmp_gt_u32_e64 s0, 10, v28
	v_pack_b32_f16 v41, v47, v63
	v_pack_b32_f16 v37, v77, v37
	;; [unrolled: 1-line block ×4, first 2 shown]
	ds_store_2addr_b32 v14, v40, v15 offset1:1
	ds_store_2addr_b32 v14, v37, v41 offset0:2 offset1:3
	ds_store_b32 v14, v36 offset:16
	ds_store_2addr_b32 v62, v43, v38 offset1:1
	ds_store_2addr_b32 v62, v42, v39 offset0:2 offset1:3
	ds_store_b32 v62, v10 offset:16
	v_add_nc_u32_e32 v36, v50, v12
	v_lshl_add_u32 v39, v3, 1, v50
	v_add3_u32 v38, 0, v12, v8
	v_pack_b32_f16 v15, v70, v81
	v_pack_b32_f16 v53, v59, v60
	;; [unrolled: 1-line block ×3, first 2 shown]
	v_cndmask_b32_e64 v48, v54, v28, s0
	v_and_b32_e32 v54, 0xff, v2
	v_lshl_add_u32 v37, v6, 1, v50
	v_lshl_add_u32 v43, v9, 1, v50
	v_pack_b32_f16 v60, v82, v71
	v_pack_b32_f16 v57, v57, v67
	v_add_f16_e32 v79, v72, v74
	v_lshl_add_u32 v40, v4, 1, v50
	v_add_f16_e32 v83, v78, v51
	v_sub_f16_e32 v58, v72, v74
	v_lshl_add_u32 v44, v11, 1, v50
	v_sub_f16_e32 v64, v78, v51
	s_waitcnt lgkmcnt(0)
	s_barrier
	buffer_gl0_inv
	v_lshl_add_u32 v41, v7, 1, v50
	v_mad_i32_i24 v42, 0xffffffee, v2, v62
	ds_load_u16 v47, v39
	ds_load_u16 v68, v43
	;; [unrolled: 1-line block ×4, first 2 shown]
	ds_load_u16 v72, v38 offset:320
	ds_load_u16 v74, v38 offset:352
	ds_load_u16 v75, v38 offset:384
	ds_load_u16 v76, v38 offset:416
	v_lshl_add_u32 v45, v5, 1, v50
	v_lshl_add_u32 v46, v13, 1, v50
	ds_load_u16 v77, v38 offset:512
	ds_load_u16 v78, v38 offset:544
	;; [unrolled: 1-line block ×3, first 2 shown]
	ds_load_u16 v12, v40
	ds_load_u16 v85, v44
	;; [unrolled: 1-line block ×4, first 2 shown]
	ds_load_u16 v87, v38 offset:480
	ds_load_u16 v88, v38 offset:448
	ds_load_u16 v89, v41
	ds_load_u16 v50, v42
	ds_load_u16 v90, v38 offset:608
	s_waitcnt lgkmcnt(0)
	s_barrier
	buffer_gl0_inv
	ds_store_2addr_b32 v14, v53, v15 offset1:1
	ds_store_2addr_b32 v14, v60, v59 offset0:2 offset1:3
	ds_store_b32 v14, v57 offset:16
	v_mov_b32_e32 v15, 0
	v_pack_b32_f16 v55, v52, v55
	v_mul_i32_i24_e32 v14, 3, v48
	v_mul_lo_u16 v52, 0xcd, v54
	v_pack_b32_f16 v57, v79, v80
	v_pack_b32_f16 v54, v56, v58
	v_pack_b32_f16 v56, v83, v49
	v_pack_b32_f16 v58, v61, v64
	v_lshrrev_b16 v49, 11, v52
	v_lshlrev_b64 v[52:53], 2, v[14:15]
	ds_store_2addr_b32 v62, v55, v57 offset1:1
	ds_store_2addr_b32 v62, v56, v54 offset0:2 offset1:3
	ds_store_b32 v62, v58 offset:16
	v_and_b32_e32 v55, 0xff, v3
	s_waitcnt lgkmcnt(0)
	v_mul_lo_u16 v14, v49, 10
	s_barrier
	v_add_co_u32 v52, s0, s4, v52
	s_delay_alu instid0(VALU_DEP_1)
	v_add_co_ci_u32_e64 v53, s0, s5, v53, s0
	v_mul_lo_u16 v55, 0xcd, v55
	buffer_gl0_inv
	v_sub_nc_u16 v14, v2, v14
	global_load_b96 v[52:54], v[52:53], off
	v_and_b32_e32 v59, 0xff, v4
	v_lshrrev_b16 v67, 11, v55
	v_cmp_lt_u32_e64 s0, 9, v28
	v_and_b32_e32 v14, 0xff, v14
	v_lshlrev_b32_e32 v48, 1, v48
	v_mul_lo_u16 v59, 0xcd, v59
	v_mul_lo_u16 v58, v67, 10
	v_and_b32_e32 v49, 0xffff, v49
	v_mul_u32_u24_e32 v56, 3, v14
	v_and_b32_e32 v67, 0xffff, v67
	v_lshrrev_b16 v71, 11, v59
	v_sub_nc_u16 v58, v3, v58
	v_mad_u32_u24 v49, 0x50, v49, 0
	v_lshlrev_b32_e32 v55, 2, v56
	v_lshlrev_b32_e32 v14, 1, v14
	v_mul_lo_u16 v60, v71, 10
	v_and_b32_e32 v70, 0xff, v58
	v_and_b32_e32 v58, 0xff, v5
	global_load_b96 v[55:57], v55, s[4:5]
	v_mad_u32_u24 v67, 0x50, v67, 0
	v_sub_nc_u16 v61, v4, v60
	v_mul_u32_u24_e32 v59, 3, v70
	v_mul_lo_u16 v58, 0xcd, v58
	v_lshlrev_b32_e32 v70, 1, v70
	v_and_b32_e32 v71, 0xffff, v71
	v_and_b32_e32 v79, 0xff, v61
	v_lshlrev_b32_e32 v59, 2, v59
	v_lshrrev_b16 v73, 11, v58
	v_add3_u32 v14, v49, v14, v8
	v_add3_u32 v49, v67, v70, v8
	v_mul_u32_u24_e32 v62, 3, v79
	global_load_b96 v[58:60], v59, s[4:5]
	v_mul_lo_u16 v61, v73, 10
	v_and_b32_e32 v67, 0xffff, v73
	v_lshlrev_b32_e32 v62, 2, v62
	s_delay_alu instid0(VALU_DEP_3) | instskip(NEXT) | instid1(VALU_DEP_1)
	v_sub_nc_u16 v61, v5, v61
	v_and_b32_e32 v80, 0xff, v61
	global_load_b96 v[61:63], v62, s[4:5]
	v_mul_u32_u24_e32 v64, 3, v80
	s_delay_alu instid0(VALU_DEP_1)
	v_lshlrev_b32_e32 v64, 2, v64
	global_load_b96 v[64:66], v64, s[4:5]
	ds_load_u16 v81, v37
	ds_load_u16 v82, v38 offset:320
	ds_load_u16 v83, v38 offset:480
	;; [unrolled: 1-line block ×6, first 2 shown]
	ds_load_u16 v97, v36
	ds_load_u16 v99, v41
	s_waitcnt vmcnt(4)
	v_lshrrev_b32_e32 v91, 16, v52
	v_lshrrev_b32_e32 v92, 16, v53
	;; [unrolled: 1-line block ×3, first 2 shown]
	s_waitcnt lgkmcnt(8)
	s_delay_alu instid0(VALU_DEP_3) | instskip(SKIP_3) | instid1(VALU_DEP_3)
	v_mul_f16_e32 v98, v81, v91
	v_mul_f16_e32 v91, v69, v91
	s_waitcnt lgkmcnt(7)
	v_mul_f16_e32 v101, v82, v92
	v_fmac_f16_e32 v98, v69, v52
	s_delay_alu instid0(VALU_DEP_3)
	v_fma_f16 v52, v81, v52, -v91
	ds_load_u16 v91, v38 offset:512
	v_mul_f16_e32 v69, v72, v92
	s_waitcnt lgkmcnt(7)
	v_mul_f16_e32 v81, v83, v100
	v_fmac_f16_e32 v101, v72, v53
	v_mul_f16_e32 v72, v87, v100
	v_fma_f16 v53, v82, v53, -v69
	s_delay_alu instid0(VALU_DEP_4)
	v_fmac_f16_e32 v81, v87, v54
	s_waitcnt vmcnt(3)
	v_lshrrev_b32_e32 v69, 16, v55
	v_fma_f16 v54, v83, v54, -v72
	v_lshrrev_b32_e32 v72, 16, v56
	ds_load_u16 v82, v43
	ds_load_u16 v83, v38 offset:544
	ds_load_u16 v87, v38 offset:576
	;; [unrolled: 1-line block ×3, first 2 shown]
	ds_load_u16 v100, v39
	ds_load_u16 v102, v42
	v_lshrrev_b32_e32 v105, 16, v57
	s_waitcnt lgkmcnt(7)
	v_mul_f16_e32 v103, v99, v69
	v_mul_f16_e32 v69, v89, v69
	;; [unrolled: 1-line block ×4, first 2 shown]
	v_sub_f16_e32 v53, v97, v53
	v_fmac_f16_e32 v103, v89, v55
	v_fma_f16 v55, v99, v55, -v69
	v_fmac_f16_e32 v104, v74, v56
	s_waitcnt lgkmcnt(6)
	v_mul_f16_e32 v69, v91, v105
	v_fma_f16 v56, v93, v56, -v72
	v_mul_f16_e32 v72, v77, v105
	s_waitcnt vmcnt(2)
	v_lshrrev_b32_e32 v74, 16, v58
	ds_load_u16 v93, v44
	v_lshrrev_b32_e32 v89, 16, v59
	v_fmac_f16_e32 v69, v77, v57
	v_fma_f16 v57, v91, v57, -v72
	s_waitcnt lgkmcnt(6)
	v_mul_f16_e32 v72, v82, v74
	v_mul_f16_e32 v74, v68, v74
	v_mul_f16_e32 v77, v94, v89
	v_lshrrev_b32_e32 v91, 16, v60
	v_mul_f16_e32 v89, v75, v89
	v_fmac_f16_e32 v72, v68, v58
	v_fma_f16 v58, v82, v58, -v74
	ds_load_u16 v74, v46
	v_fmac_f16_e32 v77, v75, v59
	s_waitcnt lgkmcnt(6)
	v_mul_f16_e32 v68, v83, v91
	v_mul_f16_e32 v75, v78, v91
	s_waitcnt vmcnt(1)
	v_lshrrev_b32_e32 v82, 16, v61
	v_fma_f16 v59, v94, v59, -v89
	v_sub_f16_e32 v54, v52, v54
	v_fmac_f16_e32 v68, v78, v60
	v_lshrrev_b32_e32 v78, 16, v62
	s_waitcnt lgkmcnt(1)
	v_mul_f16_e32 v94, v93, v82
	v_fma_f16 v60, v83, v60, -v75
	v_mul_f16_e32 v75, v85, v82
	v_lshrrev_b32_e32 v83, 16, v63
	v_mul_f16_e32 v82, v95, v78
	v_fmac_f16_e32 v94, v85, v61
	v_mul_f16_e32 v78, v76, v78
	v_fma_f16 v61, v93, v61, -v75
	s_waitcnt vmcnt(0)
	v_lshrrev_b32_e32 v75, 16, v64
	v_mul_f16_e32 v85, v87, v83
	v_fmac_f16_e32 v82, v76, v62
	v_fma_f16 v62, v95, v62, -v78
	v_mul_f16_e32 v76, v84, v83
	s_waitcnt lgkmcnt(0)
	v_mul_f16_e32 v78, v74, v75
	v_mul_f16_e32 v75, v86, v75
	v_lshrrev_b32_e32 v83, 16, v65
	v_fmac_f16_e32 v85, v84, v63
	v_fma_f16 v63, v87, v63, -v76
	v_fmac_f16_e32 v78, v86, v64
	v_lshrrev_b32_e32 v76, 16, v66
	v_fma_f16 v64, v74, v64, -v75
	v_mul_f16_e32 v74, v96, v83
	v_sub_f16_e32 v75, v51, v101
	v_sub_f16_e32 v81, v98, v81
	v_fma_f16 v84, v97, 2.0, -v53
	v_fma_f16 v52, v52, 2.0, -v54
	v_mul_f16_e32 v83, v88, v83
	ds_load_u16 v89, v45
	ds_load_u16 v91, v40
	v_fmac_f16_e32 v74, v88, v65
	v_fma_f16 v51, v51, 2.0, -v75
	v_fma_f16 v86, v98, 2.0, -v81
	v_mul_f16_e32 v87, v92, v76
	v_mul_f16_e32 v76, v90, v76
	v_sub_f16_e32 v52, v84, v52
	v_fma_f16 v65, v96, v65, -v83
	v_sub_f16_e32 v83, v50, v104
	v_sub_f16_e32 v69, v103, v69
	v_cndmask_b32_e64 v93, 0, 0x50, s0
	v_sub_f16_e32 v86, v51, v86
	v_fmac_f16_e32 v87, v90, v66
	v_fma_f16 v66, v92, v66, -v76
	v_fma_f16 v76, v84, 2.0, -v52
	v_fma_f16 v50, v50, 2.0, -v83
	v_fma_f16 v84, v103, 2.0, -v69
	v_sub_f16_e32 v77, v47, v77
	v_sub_f16_e32 v68, v72, v68
	v_add_nc_u32_e32 v93, 0, v93
	v_add_f16_e32 v54, v75, v54
	v_sub_f16_e32 v57, v55, v57
	v_sub_f16_e32 v82, v12, v82
	;; [unrolled: 1-line block ×3, first 2 shown]
	v_fma_f16 v51, v51, 2.0, -v86
	v_sub_f16_e32 v56, v102, v56
	v_sub_f16_e32 v84, v50, v84
	v_fma_f16 v47, v47, 2.0, -v77
	v_fma_f16 v72, v72, 2.0, -v68
	v_sub_f16_e32 v74, v10, v74
	v_sub_f16_e32 v87, v78, v87
	v_add3_u32 v48, v93, v48, v8
	v_fma_f16 v75, v75, 2.0, -v54
	v_fma_f16 v55, v55, 2.0, -v57
	v_sub_f16_e32 v59, v100, v59
	v_sub_f16_e32 v60, v58, v60
	v_add_f16_e32 v57, v83, v57
	v_fma_f16 v12, v12, 2.0, -v82
	v_fma_f16 v92, v94, 2.0, -v85
	v_sub_f16_e32 v63, v61, v63
	v_fma_f16 v88, v102, 2.0, -v56
	v_fma_f16 v50, v50, 2.0, -v84
	v_sub_f16_e32 v72, v47, v72
	v_fma_f16 v10, v10, 2.0, -v74
	v_sub_f16_e32 v66, v64, v66
	v_fma_f16 v78, v78, 2.0, -v87
	s_waitcnt lgkmcnt(0)
	s_barrier
	buffer_gl0_inv
	ds_store_b16 v48, v51
	ds_store_b16 v48, v75 offset:20
	ds_store_b16 v48, v86 offset:40
	;; [unrolled: 1-line block ×3, first 2 shown]
	v_mad_u32_u24 v51, 0x50, v71, 0
	v_lshlrev_b32_e32 v54, 1, v79
	v_fma_f16 v90, v100, 2.0, -v59
	v_fma_f16 v58, v58, 2.0, -v60
	;; [unrolled: 1-line block ×3, first 2 shown]
	v_add_f16_e32 v60, v77, v60
	v_sub_f16_e32 v62, v91, v62
	v_sub_f16_e32 v92, v12, v92
	;; [unrolled: 1-line block ×3, first 2 shown]
	v_fma_f16 v61, v61, 2.0, -v63
	v_add_f16_e32 v63, v82, v63
	v_sub_f16_e32 v65, v89, v65
	v_sub_f16_e32 v55, v88, v55
	v_fma_f16 v47, v47, 2.0, -v72
	v_fma_f16 v64, v64, 2.0, -v66
	v_sub_f16_e32 v78, v10, v78
	v_add_f16_e32 v66, v74, v66
	ds_store_b16 v14, v50
	ds_store_b16 v14, v83 offset:20
	ds_store_b16 v14, v84 offset:40
	;; [unrolled: 1-line block ×3, first 2 shown]
	v_add3_u32 v50, v51, v54, v8
	v_mad_u32_u24 v51, 0x50, v67, 0
	v_lshlrev_b32_e32 v54, 1, v80
	v_sub_f16_e32 v69, v56, v69
	v_sub_f16_e32 v58, v90, v58
	;; [unrolled: 1-line block ×3, first 2 shown]
	v_fma_f16 v91, v91, 2.0, -v62
	v_fma_f16 v77, v77, 2.0, -v60
	;; [unrolled: 1-line block ×9, first 2 shown]
	ds_store_b16 v49, v47
	ds_store_b16 v49, v77 offset:20
	ds_store_b16 v49, v72 offset:40
	;; [unrolled: 1-line block ×3, first 2 shown]
	v_add3_u32 v47, v51, v54, v8
	v_fma_f16 v56, v56, 2.0, -v69
	v_fma_f16 v90, v90, 2.0, -v58
	;; [unrolled: 1-line block ×3, first 2 shown]
	v_sub_f16_e32 v61, v91, v61
	ds_store_b16 v50, v12
	ds_store_b16 v50, v82 offset:20
	ds_store_b16 v50, v92 offset:40
	;; [unrolled: 1-line block ×3, first 2 shown]
	ds_store_b16 v47, v10
	ds_store_b16 v47, v74 offset:20
	ds_store_b16 v47, v78 offset:40
	;; [unrolled: 1-line block ×3, first 2 shown]
	s_waitcnt lgkmcnt(0)
	s_barrier
	buffer_gl0_inv
	ds_load_u16 v10, v39
	ds_load_u16 v12, v43
	;; [unrolled: 1-line block ×4, first 2 shown]
	ds_load_u16 v67, v38 offset:320
	ds_load_u16 v70, v38 offset:352
	;; [unrolled: 1-line block ×7, first 2 shown]
	ds_load_u16 v77, v40
	ds_load_u16 v78, v44
	;; [unrolled: 1-line block ×4, first 2 shown]
	ds_load_u16 v82, v38 offset:480
	ds_load_u16 v83, v38 offset:448
	ds_load_u16 v84, v41
	ds_load_u16 v86, v42
	ds_load_u16 v92, v38 offset:608
	s_waitcnt lgkmcnt(0)
	s_barrier
	buffer_gl0_inv
	ds_store_b16 v48, v76
	ds_store_b16 v48, v53 offset:20
	ds_store_b16 v48, v52 offset:40
	ds_store_b16 v48, v81 offset:60
	ds_store_b16 v14, v88
	ds_store_b16 v14, v56 offset:20
	ds_store_b16 v14, v55 offset:40
	ds_store_b16 v14, v69 offset:60
	ds_store_b16 v49, v90
	ds_store_b16 v49, v59 offset:20
	ds_store_b16 v49, v58 offset:40
	ds_store_b16 v49, v68 offset:60
	v_mul_u32_u24_e32 v14, 3, v28
	v_sub_f16_e32 v85, v62, v85
	v_sub_f16_e32 v64, v89, v64
	;; [unrolled: 1-line block ×3, first 2 shown]
	v_fma_f16 v91, v91, 2.0, -v61
	v_lshlrev_b32_e32 v59, 2, v14
	v_mul_i32_i24_e32 v14, 3, v2
	v_fma_f16 v62, v62, 2.0, -v85
	v_fma_f16 v89, v89, 2.0, -v64
	;; [unrolled: 1-line block ×3, first 2 shown]
	ds_store_b16 v50, v91
	ds_store_b16 v50, v62 offset:20
	ds_store_b16 v50, v61 offset:40
	ds_store_b16 v50, v85 offset:60
	v_lshlrev_b64 v[50:51], 2, v[14:15]
	v_add_nc_u32_e32 v52, -8, v28
	v_cmp_gt_u32_e64 s0, 40, v3
	ds_store_b16 v47, v89
	ds_store_b16 v47, v65 offset:20
	ds_store_b16 v47, v64 offset:40
	;; [unrolled: 1-line block ×3, first 2 shown]
	s_waitcnt lgkmcnt(0)
	s_barrier
	buffer_gl0_inv
	global_load_b96 v[47:49], v59, s[4:5] offset:120
	v_cndmask_b32_e64 v62, v52, v3, s0
	v_add_co_u32 v50, s0, s4, v50
	s_delay_alu instid0(VALU_DEP_1) | instskip(NEXT) | instid1(VALU_DEP_3)
	v_add_co_ci_u32_e64 v51, s0, s5, v51, s0
	v_mul_i32_i24_e32 v14, 3, v62
	global_load_b96 v[50:52], v[50:51], off offset:120
	v_lshlrev_b64 v[53:54], 2, v[14:15]
	s_delay_alu instid0(VALU_DEP_1) | instskip(NEXT) | instid1(VALU_DEP_1)
	v_add_co_u32 v53, s0, s4, v53
	v_add_co_ci_u32_e64 v54, s0, s5, v54, s0
	s_clause 0x2
	global_load_b96 v[53:55], v[53:54], off offset:120
	global_load_b96 v[56:58], v59, s[4:5] offset:216
	global_load_b96 v[59:61], v59, s[4:5] offset:408
	ds_load_u16 v14, v37
	ds_load_u16 v64, v38 offset:320
	ds_load_u16 v65, v38 offset:480
	;; [unrolled: 1-line block ×6, first 2 shown]
	ds_load_u16 v87, v36
	ds_load_u16 v90, v41
	;; [unrolled: 1-line block ×4, first 2 shown]
	v_cmp_lt_u32_e64 s0, 39, v3
	s_waitcnt vmcnt(4)
	v_lshrrev_b32_e32 v68, 16, v47
	v_lshrrev_b32_e32 v88, 16, v48
	;; [unrolled: 1-line block ×3, first 2 shown]
	s_waitcnt lgkmcnt(10)
	s_delay_alu instid0(VALU_DEP_3) | instskip(SKIP_3) | instid1(VALU_DEP_3)
	v_mul_f16_e32 v89, v14, v68
	v_mul_f16_e32 v68, v66, v68
	s_waitcnt lgkmcnt(9)
	v_mul_f16_e32 v95, v64, v88
	v_fmac_f16_e32 v89, v66, v47
	s_delay_alu instid0(VALU_DEP_3)
	v_fma_f16 v14, v14, v47, -v68
	v_mul_f16_e32 v47, v67, v88
	s_waitcnt lgkmcnt(8)
	v_mul_f16_e32 v66, v65, v94
	ds_load_u16 v68, v38 offset:512
	v_fmac_f16_e32 v95, v67, v48
	s_waitcnt vmcnt(3)
	v_lshrrev_b32_e32 v67, 16, v50
	v_mul_f16_e32 v88, v82, v94
	v_fmac_f16_e32 v66, v82, v49
	v_lshrrev_b32_e32 v82, 16, v51
	v_fma_f16 v47, v64, v48, -v47
	s_waitcnt lgkmcnt(3)
	v_mul_f16_e32 v96, v90, v67
	v_mul_f16_e32 v67, v84, v67
	v_fma_f16 v49, v65, v49, -v88
	v_mul_f16_e32 v65, v69, v82
	ds_load_u16 v48, v38 offset:544
	ds_load_u16 v64, v38 offset:576
	v_fmac_f16_e32 v96, v84, v50
	v_fma_f16 v50, v90, v50, -v67
	v_mul_f16_e32 v67, v70, v82
	ds_load_u16 v94, v42
	v_lshrrev_b32_e32 v88, 16, v52
	v_fmac_f16_e32 v65, v70, v51
	ds_load_u16 v70, v38 offset:608
	v_fma_f16 v51, v69, v51, -v67
	ds_load_u16 v67, v40
	ds_load_u16 v69, v44
	s_waitcnt lgkmcnt(6)
	v_mul_f16_e32 v82, v68, v88
	s_waitcnt vmcnt(2)
	v_lshrrev_b32_e32 v84, 16, v53
	v_mul_f16_e32 v88, v73, v88
	v_lshrrev_b32_e32 v90, 16, v54
	v_sub_f16_e32 v66, v89, v66
	v_fmac_f16_e32 v82, v73, v52
	v_mul_f16_e32 v73, v93, v84
	v_fma_f16 v52, v68, v52, -v88
	v_mul_f16_e32 v68, v12, v84
	v_mul_f16_e32 v84, v76, v90
	v_lshrrev_b32_e32 v88, 16, v55
	v_fmac_f16_e32 v73, v12, v53
	v_mul_f16_e32 v90, v71, v90
	v_fma_f16 v53, v93, v53, -v68
	v_fmac_f16_e32 v84, v71, v54
	s_waitcnt lgkmcnt(5)
	v_mul_f16_e32 v68, v48, v88
	s_waitcnt vmcnt(1)
	v_lshrrev_b32_e32 v71, 16, v56
	ds_load_u16 v12, v45
	ds_load_u16 v97, v46
	v_mul_f16_e32 v88, v74, v88
	v_fma_f16 v54, v76, v54, -v90
	v_lshrrev_b32_e32 v76, 16, v57
	v_fmac_f16_e32 v68, v74, v55
	s_waitcnt lgkmcnt(2)
	v_mul_f16_e32 v74, v69, v71
	v_mul_f16_e32 v71, v78, v71
	v_fma_f16 v48, v48, v55, -v88
	v_mul_f16_e32 v55, v81, v76
	v_lshrrev_b32_e32 v88, 16, v58
	v_fmac_f16_e32 v74, v78, v56
	v_fma_f16 v56, v69, v56, -v71
	v_mul_f16_e32 v69, v72, v76
	v_fmac_f16_e32 v55, v72, v57
	v_mul_f16_e32 v71, v64, v88
	v_mul_f16_e32 v72, v75, v88
	s_waitcnt vmcnt(0)
	v_lshrrev_b32_e32 v76, 16, v59
	v_fma_f16 v57, v81, v57, -v69
	v_lshrrev_b32_e32 v69, 16, v60
	v_fmac_f16_e32 v71, v75, v58
	v_fma_f16 v58, v64, v58, -v72
	s_waitcnt lgkmcnt(0)
	v_mul_f16_e32 v64, v97, v76
	v_mul_f16_e32 v72, v80, v76
	;; [unrolled: 1-line block ×4, first 2 shown]
	v_lshrrev_b32_e32 v76, 16, v61
	v_fmac_f16_e32 v64, v80, v59
	v_fma_f16 v59, v97, v59, -v72
	v_fmac_f16_e32 v75, v83, v60
	v_fma_f16 v60, v85, v60, -v69
	v_sub_f16_e32 v69, v63, v95
	v_mul_f16_e32 v72, v70, v76
	v_mul_f16_e32 v76, v92, v76
	v_fma_f16 v78, v89, 2.0, -v66
	v_sub_f16_e32 v65, v86, v65
	v_fma_f16 v63, v63, 2.0, -v69
	v_fmac_f16_e32 v72, v92, v61
	v_fma_f16 v61, v70, v61, -v76
	v_sub_f16_e32 v51, v94, v51
	v_sub_f16_e32 v52, v50, v52
	;; [unrolled: 1-line block ×6, first 2 shown]
	v_fma_f16 v80, v86, 2.0, -v65
	v_fma_f16 v81, v94, 2.0, -v51
	;; [unrolled: 1-line block ×5, first 2 shown]
	v_add_f16_e32 v49, v69, v49
	v_sub_f16_e32 v83, v47, v66
	v_sub_f16_e32 v66, v80, v82
	;; [unrolled: 1-line block ×5, first 2 shown]
	v_fma_f16 v70, v87, 2.0, -v47
	v_fma_f16 v50, v69, 2.0, -v49
	v_fma_f16 v69, v47, 2.0, -v83
	v_fma_f16 v47, v80, 2.0, -v66
	v_fma_f16 v80, v81, 2.0, -v82
	v_sub_f16_e32 v81, v10, v84
	v_sub_f16_e32 v78, v51, v78
	v_fma_f16 v84, v91, 2.0, -v54
	v_fma_f16 v53, v53, 2.0, -v48
	v_sub_f16_e32 v68, v73, v68
	v_sub_f16_e32 v58, v56, v58
	v_fma_f16 v85, v51, 2.0, -v78
	v_sub_f16_e32 v51, v77, v55
	v_sub_f16_e32 v86, v84, v53
	;; [unrolled: 1-line block ×4, first 2 shown]
	v_fma_f16 v73, v73, 2.0, -v68
	v_fma_f16 v57, v77, 2.0, -v51
	v_add_f16_e32 v48, v81, v48
	v_fma_f16 v71, v74, 2.0, -v53
	v_sub_f16_e32 v68, v54, v68
	v_fma_f16 v67, v67, 2.0, -v55
	v_fma_f16 v56, v56, 2.0, -v58
	;; [unrolled: 1-line block ×3, first 2 shown]
	v_sub_f16_e32 v71, v57, v71
	v_fma_f16 v74, v84, 2.0, -v86
	v_fma_f16 v77, v81, 2.0, -v48
	;; [unrolled: 1-line block ×3, first 2 shown]
	v_sub_f16_e32 v84, v67, v56
	v_fma_f16 v54, v57, 2.0, -v71
	v_sub_f16_e32 v56, v79, v75
	v_sub_f16_e32 v57, v64, v72
	;; [unrolled: 1-line block ×5, first 2 shown]
	v_fma_f16 v72, v79, 2.0, -v56
	v_fma_f16 v64, v64, 2.0, -v57
	;; [unrolled: 1-line block ×4, first 2 shown]
	v_sub_f16_e32 v88, v60, v57
	v_cndmask_b32_e64 v57, 0, 0x140, s0
	v_sub_f16_e32 v53, v72, v64
	v_add_f16_e32 v52, v65, v52
	v_sub_f16_e32 v73, v10, v73
	v_add_f16_e32 v58, v51, v58
	;; [unrolled: 2-line block ×3, first 2 shown]
	v_fma_f16 v87, v55, 2.0, -v75
	v_fma_f16 v55, v72, 2.0, -v53
	;; [unrolled: 1-line block ×3, first 2 shown]
	v_add_nc_u32_e32 v57, 0, v57
	v_lshlrev_b32_e32 v60, 1, v62
	v_fma_f16 v63, v63, 2.0, -v76
	v_fma_f16 v65, v65, 2.0, -v52
	;; [unrolled: 1-line block ×5, first 2 shown]
	v_add3_u32 v8, v57, v60, v8
	s_barrier
	buffer_gl0_inv
	ds_store_b16 v38, v63
	ds_store_b16 v38, v50 offset:80
	ds_store_b16 v38, v76 offset:160
	ds_store_b16 v38, v49 offset:240
	ds_store_b16 v42, v47
	ds_store_b16 v42, v65 offset:80
	ds_store_b16 v42, v66 offset:160
	ds_store_b16 v42, v52 offset:240
	;; [unrolled: 4-line block ×3, first 2 shown]
	ds_store_b16 v38, v54 offset:336
	ds_store_b16 v38, v51 offset:416
	;; [unrolled: 1-line block ×8, first 2 shown]
	s_waitcnt lgkmcnt(0)
	s_barrier
	buffer_gl0_inv
	ds_load_u16 v47, v36
	ds_load_u16 v48, v40
	ds_load_u16 v57, v38 offset:384
	ds_load_u16 v59, v38 offset:416
	;; [unrolled: 1-line block ×6, first 2 shown]
	ds_load_u16 v49, v37
	ds_load_u16 v54, v46
	;; [unrolled: 1-line block ×4, first 2 shown]
	ds_load_u16 v63, v38 offset:512
	ds_load_u16 v64, v38 offset:544
	;; [unrolled: 1-line block ×3, first 2 shown]
	ds_load_u16 v56, v43
	ds_load_u16 v52, v39
	;; [unrolled: 1-line block ×4, first 2 shown]
	ds_load_u16 v66, v38 offset:608
	v_sub_f16_e32 v14, v70, v14
	v_fma_f16 v67, v67, 2.0, -v84
	v_fma_f16 v12, v12, 2.0, -v79
	s_waitcnt lgkmcnt(0)
	s_barrier
	v_fma_f16 v70, v70, 2.0, -v14
	buffer_gl0_inv
	ds_store_b16 v38, v70
	ds_store_b16 v38, v69 offset:80
	ds_store_b16 v38, v14 offset:160
	ds_store_b16 v38, v83 offset:240
	ds_store_b16 v42, v80
	ds_store_b16 v42, v85 offset:80
	ds_store_b16 v42, v82 offset:160
	ds_store_b16 v42, v78 offset:240
	;; [unrolled: 4-line block ×3, first 2 shown]
	ds_store_b16 v38, v67 offset:336
	ds_store_b16 v38, v87 offset:416
	;; [unrolled: 1-line block ×8, first 2 shown]
	s_waitcnt lgkmcnt(0)
	s_barrier
	buffer_gl0_inv
	s_and_saveexec_b32 s0, vcc_lo
	s_cbranch_execz .LBB0_15
; %bb.14:
	v_mov_b32_e32 v8, v15
	v_mov_b32_e32 v14, v15
	;; [unrolled: 1-line block ×4, first 2 shown]
	s_delay_alu instid0(VALU_DEP_4) | instskip(SKIP_4) | instid1(VALU_DEP_4)
	v_lshlrev_b64 v[67:68], 2, v[7:8]
	v_mov_b32_e32 v7, v15
	v_lshlrev_b64 v[13:14], 2, v[13:14]
	v_lshlrev_b64 v[11:12], 2, v[11:12]
	v_lshlrev_b64 v[9:10], 2, v[9:10]
	v_lshlrev_b64 v[69:70], 2, v[6:7]
	v_mov_b32_e32 v6, v15
	v_add_co_u32 v13, vcc_lo, s4, v13
	v_add_co_ci_u32_e32 v14, vcc_lo, s5, v14, vcc_lo
	v_add_co_u32 v11, vcc_lo, s4, v11
	s_delay_alu instid0(VALU_DEP_4) | instskip(SKIP_4) | instid1(VALU_DEP_4)
	v_lshlrev_b64 v[6:7], 2, v[5:6]
	v_mov_b32_e32 v5, v15
	v_add_co_ci_u32_e32 v12, vcc_lo, s5, v12, vcc_lo
	v_add_co_u32 v8, vcc_lo, s4, v9
	v_add_co_ci_u32_e32 v9, vcc_lo, s5, v10, vcc_lo
	v_lshlrev_b64 v[71:72], 2, v[4:5]
	v_mov_b32_e32 v4, v15
	v_add_co_u32 v67, vcc_lo, s4, v67
	v_add_co_ci_u32_e32 v68, vcc_lo, s5, v68, vcc_lo
	v_add_co_u32 v69, vcc_lo, s4, v69
	s_delay_alu instid0(VALU_DEP_4)
	v_lshlrev_b64 v[4:5], 2, v[3:4]
	v_mov_b32_e32 v3, v15
	v_add_co_ci_u32_e32 v70, vcc_lo, s5, v70, vcc_lo
	v_add_co_u32 v6, vcc_lo, s4, v6
	v_add_co_ci_u32_e32 v7, vcc_lo, s5, v7, vcc_lo
	s_clause 0x5
	global_load_b32 v82, v[13:14], off offset:600
	global_load_b32 v83, v[11:12], off offset:600
	;; [unrolled: 1-line block ×6, first 2 shown]
	v_add_co_u32 v6, vcc_lo, s4, v71
	v_lshlrev_b64 v[2:3], 2, v[2:3]
	v_add_co_ci_u32_e32 v7, vcc_lo, s5, v72, vcc_lo
	v_add_co_u32 v4, vcc_lo, s4, v4
	v_add_co_ci_u32_e32 v5, vcc_lo, s5, v5, vcc_lo
	s_delay_alu instid0(VALU_DEP_4)
	v_add_co_u32 v2, vcc_lo, s4, v2
	v_add_co_ci_u32_e32 v3, vcc_lo, s5, v3, vcc_lo
	global_load_b32 v88, v[6:7], off offset:600
	v_lshlrev_b32_e32 v6, 2, v28
	s_clause 0x2
	global_load_b32 v89, v[4:5], off offset:600
	global_load_b32 v90, v[2:3], off offset:600
	global_load_b32 v91, v6, s[4:5] offset:600
	v_mad_u64_u32 v[2:3], null, s8, v28, 0
	v_mad_u64_u32 v[4:5], null, s8, v25, 0
	v_add_co_u32 v104, vcc_lo, s10, v0
	ds_load_u16 v92, v43
	ds_load_u16 v93, v39
	;; [unrolled: 1-line block ×4, first 2 shown]
	ds_load_u16 v96, v38 offset:608
	ds_load_u16 v97, v38 offset:576
	;; [unrolled: 1-line block ×4, first 2 shown]
	ds_load_u16 v100, v46
	ds_load_u16 v101, v45
	;; [unrolled: 1-line block ×4, first 2 shown]
	v_mad_u64_u32 v[41:42], null, s8, v30, 0
	v_add_co_ci_u32_e32 v105, vcc_lo, s11, v1, vcc_lo
	v_mad_u64_u32 v[0:1], null, s8, v34, 0
	v_mad_u64_u32 v[43:44], null, s8, v23, 0
	;; [unrolled: 1-line block ×11, first 2 shown]
	v_mov_b32_e32 v3, v42
	v_mad_u64_u32 v[39:40], null, s8, v24, 0
	v_mad_u64_u32 v[74:75], null, s9, v34, v[1:2]
	v_mov_b32_e32 v1, v44
	v_mad_u64_u32 v[75:76], null, s9, v25, v[5:6]
	v_mad_u64_u32 v[76:77], null, s9, v35, v[7:8]
	v_mov_b32_e32 v5, v46
	v_mad_u64_u32 v[77:78], null, s9, v26, v[13:14]
	v_mov_b32_e32 v7, v68
	v_mad_u64_u32 v[71:72], null, s8, v21, 0
	v_mad_u64_u32 v[78:79], null, s9, v30, v[3:4]
	;; [unrolled: 1-line block ×3, first 2 shown]
	v_mov_b32_e32 v3, v73
	v_mad_u64_u32 v[34:35], null, s9, v27, v[9:10]
	v_mov_b32_e32 v9, v70
	v_mad_u64_u32 v[27:28], null, s9, v32, v[11:12]
	v_mad_u64_u32 v[25:26], null, s9, v33, v[15:16]
	;; [unrolled: 1-line block ×5, first 2 shown]
	v_dual_mov_b32 v1, v74 :: v_dual_mov_b32 v44, v79
	v_lshlrev_b64 v[2:3], 2, v[2:3]
	v_mov_b32_e32 v5, v75
	v_mad_u64_u32 v[80:81], null, s9, v29, v[9:10]
	v_dual_mov_b32 v68, v30 :: v_dual_mov_b32 v9, v72
	v_mov_b32_e32 v42, v78
	v_lshlrev_b64 v[0:1], 2, v[0:1]
	v_dual_mov_b32 v7, v76 :: v_dual_mov_b32 v46, v23
	ds_load_u16 v81, v38 offset:480
	ds_load_u16 v106, v38 offset:448
	;; [unrolled: 1-line block ×6, first 2 shown]
	ds_load_u16 v110, v37
	ds_load_u16 v111, v36
	v_lshlrev_b64 v[4:5], 2, v[4:5]
	v_add_co_u32 v2, vcc_lo, v104, v2
	v_mad_u64_u32 v[37:38], null, s9, v21, v[9:10]
	v_dual_mov_b32 v9, v34 :: v_dual_mov_b32 v70, v80
	v_add_co_ci_u32_e32 v3, vcc_lo, v105, v3, vcc_lo
	v_lshlrev_b64 v[6:7], 2, v[6:7]
	v_add_co_u32 v0, vcc_lo, v104, v0
	v_dual_mov_b32 v11, v27 :: v_dual_mov_b32 v72, v37
	v_mad_u64_u32 v[28:29], null, s8, v20, 0
	v_add_co_ci_u32_e32 v1, vcc_lo, v105, v1, vcc_lo
	v_lshlrev_b64 v[8:9], 2, v[8:9]
	v_add_co_u32 v4, vcc_lo, v104, v4
	v_mov_b32_e32 v13, v77
	v_add_co_ci_u32_e32 v5, vcc_lo, v105, v5, vcc_lo
	v_lshlrev_b64 v[10:11], 2, v[10:11]
	v_add_co_u32 v6, vcc_lo, v104, v6
	v_mov_b32_e32 v15, v25
	;; [unrolled: 4-line block ×3, first 2 shown]
	v_mov_b32_e32 v40, v32
	v_lshlrev_b64 v[29:30], 2, v[43:44]
	v_lshlrev_b64 v[31:32], 2, v[45:46]
	v_lshlrev_b64 v[33:34], 2, v[67:68]
	v_lshlrev_b64 v[37:38], 2, v[69:70]
	v_add_co_ci_u32_e32 v9, vcc_lo, v105, v9, vcc_lo
	v_lshlrev_b64 v[14:15], 2, v[14:15]
	v_add_co_u32 v10, vcc_lo, v104, v10
	v_add_co_ci_u32_e32 v11, vcc_lo, v105, v11, vcc_lo
	v_lshlrev_b64 v[23:24], 2, v[39:40]
	v_add_co_u32 v12, vcc_lo, v104, v12
	v_add_co_ci_u32_e32 v13, vcc_lo, v105, v13, vcc_lo
	v_lshlrev_b64 v[25:26], 2, v[41:42]
	v_add_co_u32 v14, vcc_lo, v104, v14
	v_add_co_ci_u32_e32 v15, vcc_lo, v105, v15, vcc_lo
	v_add_co_u32 v23, vcc_lo, v104, v23
	v_add_co_ci_u32_e32 v24, vcc_lo, v105, v24, vcc_lo
	v_add_co_u32 v25, vcc_lo, v104, v25
	;; [unrolled: 2-line block ×4, first 2 shown]
	v_add_co_ci_u32_e32 v32, vcc_lo, v105, v32, vcc_lo
	v_mad_u64_u32 v[35:36], null, s8, v17, 0
	v_add_co_u32 v33, vcc_lo, v104, v33
	v_add_co_ci_u32_e32 v34, vcc_lo, v105, v34, vcc_lo
	s_waitcnt vmcnt(9)
	v_lshrrev_b32_e32 v21, 16, v82
	v_mul_f16_e32 v27, v66, v82
	s_waitcnt vmcnt(8)
	v_lshrrev_b32_e32 v39, 16, v83
	s_waitcnt vmcnt(6)
	v_lshrrev_b32_e32 v43, 16, v85
	v_mul_f16_e32 v44, v63, v85
	s_waitcnt vmcnt(5)
	v_lshrrev_b32_e32 v45, 16, v86
	v_mul_f16_e32 v46, v62, v86
	;; [unrolled: 3-line block ×3, first 2 shown]
	s_waitcnt lgkmcnt(12)
	v_fmac_f16_e32 v44, v99, v43
	v_mul_f16_e32 v43, v63, v43
	s_waitcnt lgkmcnt(7)
	v_fmac_f16_e32 v46, v81, v45
	v_mul_f16_e32 v45, v62, v45
	v_mul_f16_e32 v61, v61, v67
	;; [unrolled: 1-line block ×3, first 2 shown]
	v_lshrrev_b32_e32 v41, 16, v84
	v_mul_f16_e32 v42, v64, v84
	v_fmac_f16_e32 v27, v96, v21
	v_mul_f16_e32 v21, v66, v21
	s_waitcnt vmcnt(3)
	v_lshrrev_b32_e32 v69, 16, v88
	v_mul_f16_e32 v70, v59, v88
	s_waitcnt vmcnt(2)
	v_lshrrev_b32_e32 v74, 16, v89
	s_waitcnt vmcnt(1)
	v_lshrrev_b32_e32 v76, 16, v90
	;; [unrolled: 2-line block ×3, first 2 shown]
	v_mul_f16_e32 v79, v58, v91
	v_mul_f16_e32 v77, v60, v90
	;; [unrolled: 1-line block ×7, first 2 shown]
	s_waitcnt lgkmcnt(2)
	v_fmac_f16_e32 v79, v73, v78
	v_fmac_f16_e32 v77, v109, v76
	v_fma_f16 v58, v73, v91, -v58
	v_fma_f16 v60, v109, v90, -v60
	v_fmac_f16_e32 v75, v108, v74
	v_fma_f16 v57, v108, v89, -v57
	v_fmac_f16_e32 v68, v106, v67
	v_fmac_f16_e32 v70, v107, v69
	v_fma_f16 v43, v99, v85, -v43
	v_fma_f16 v45, v81, v86, -v45
	;; [unrolled: 1-line block ×4, first 2 shown]
	v_sub_f16_e32 v66, v47, v79
	s_waitcnt lgkmcnt(0)
	v_sub_f16_e32 v58, v111, v58
	v_fmac_f16_e32 v40, v97, v39
	v_mul_f16_e32 v39, v65, v39
	v_sub_f16_e32 v65, v51, v77
	v_sub_f16_e32 v60, v95, v60
	v_fmac_f16_e32 v42, v98, v41
	v_mul_f16_e32 v41, v64, v41
	v_sub_f16_e32 v64, v52, v75
	v_sub_f16_e32 v57, v93, v57
	;; [unrolled: 1-line block ×10, first 2 shown]
	v_fma_f16 v47, v47, 2.0, -v66
	v_fma_f16 v78, v111, 2.0, -v58
	;; [unrolled: 1-line block ×4, first 2 shown]
	v_fma_f16 v41, v98, v84, -v41
	v_fma_f16 v52, v52, 2.0, -v64
	v_fma_f16 v76, v93, 2.0, -v57
	;; [unrolled: 1-line block ×10, first 2 shown]
	v_pack_b32_f16 v45, v46, v45
	v_pack_b32_f16 v46, v47, v78
	;; [unrolled: 1-line block ×4, first 2 shown]
	v_sub_f16_e32 v42, v56, v42
	v_sub_f16_e32 v41, v92, v41
	v_pack_b32_f16 v60, v65, v60
	v_pack_b32_f16 v51, v52, v76
	v_pack_b32_f16 v57, v64, v57
	v_pack_b32_f16 v59, v63, v59
	v_pack_b32_f16 v61, v62, v61
	v_pack_b32_f16 v48, v48, v75
	v_pack_b32_f16 v50, v50, v74
	v_pack_b32_f16 v49, v49, v73
	v_pack_b32_f16 v52, v55, v70
	s_clause 0xc
	global_store_b32 v[2:3], v46, off
	global_store_b32 v[0:1], v58, off
	;; [unrolled: 1-line block ×13, first 2 shown]
	v_lshlrev_b64 v[2:3], 2, v[71:72]
	v_fma_f16 v56, v56, 2.0, -v42
	v_fma_f16 v69, v92, 2.0, -v41
	v_add_co_u32 v0, vcc_lo, v104, v37
	v_mad_u64_u32 v[6:7], null, s8, v19, 0
	v_mad_u64_u32 v[4:5], null, s9, v20, v[22:23]
	v_add_co_ci_u32_e32 v1, vcc_lo, v105, v38, vcc_lo
	v_mov_b32_e32 v5, v36
	v_add_co_u32 v2, vcc_lo, v104, v2
	v_pack_b32_f16 v13, v44, v43
	v_add_co_ci_u32_e32 v3, vcc_lo, v105, v3, vcc_lo
	v_pack_b32_f16 v14, v56, v69
	v_mad_u64_u32 v[8:9], null, s9, v17, v[5:6]
	v_mad_u64_u32 v[9:10], null, s8, v16, 0
	v_mov_b32_e32 v29, v4
	s_clause 0x1
	global_store_b32 v[0:1], v13, off
	global_store_b32 v[2:3], v14, off
	v_mad_u64_u32 v[3:4], null, s8, v18, 0
	v_dual_mov_b32 v5, v7 :: v_dual_mov_b32 v36, v8
	v_mov_b32_e32 v2, v10
	v_lshlrev_b64 v[0:1], 2, v[28:29]
	v_fma_f16 v39, v97, v83, -v39
	s_delay_alu instid0(VALU_DEP_4)
	v_mad_u64_u32 v[11:12], null, s9, v19, v[5:6]
	v_fma_f16 v21, v96, v82, -v21
	v_sub_f16_e32 v40, v53, v40
	v_add_co_u32 v0, vcc_lo, v104, v0
	v_add_co_ci_u32_e32 v1, vcc_lo, v105, v1, vcc_lo
	v_mov_b32_e32 v7, v11
	v_mad_u64_u32 v[10:11], null, s9, v16, v[2:3]
	v_mov_b32_e32 v2, v4
	v_lshlrev_b64 v[4:5], 2, v[35:36]
	s_delay_alu instid0(VALU_DEP_4)
	v_lshlrev_b64 v[6:7], 2, v[6:7]
	v_sub_f16_e32 v39, v102, v39
	v_sub_f16_e32 v27, v54, v27
	v_mad_u64_u32 v[11:12], null, s9, v18, v[2:3]
	v_add_co_u32 v12, vcc_lo, v104, v4
	v_sub_f16_e32 v21, v100, v21
	v_lshlrev_b64 v[8:9], 2, v[9:10]
	v_add_co_ci_u32_e32 v13, vcc_lo, v105, v5, vcc_lo
	v_mov_b32_e32 v4, v11
	v_fma_f16 v53, v53, 2.0, -v40
	v_fma_f16 v68, v102, 2.0, -v39
	v_add_co_u32 v5, vcc_lo, v104, v6
	s_delay_alu instid0(VALU_DEP_4)
	v_lshlrev_b64 v[2:3], 2, v[3:4]
	v_fma_f16 v54, v54, 2.0, -v27
	v_fma_f16 v67, v100, 2.0, -v21
	v_add_co_ci_u32_e32 v6, vcc_lo, v105, v7, vcc_lo
	v_add_co_u32 v7, vcc_lo, v104, v8
	v_pack_b32_f16 v14, v42, v41
	v_pack_b32_f16 v15, v53, v68
	v_add_co_ci_u32_e32 v8, vcc_lo, v105, v9, vcc_lo
	v_pack_b32_f16 v10, v40, v39
	v_add_co_u32 v2, vcc_lo, v104, v2
	v_pack_b32_f16 v4, v54, v67
	v_add_co_ci_u32_e32 v3, vcc_lo, v105, v3, vcc_lo
	v_pack_b32_f16 v9, v27, v21
	s_clause 0x4
	global_store_b32 v[0:1], v14, off
	global_store_b32 v[12:13], v15, off
	;; [unrolled: 1-line block ×5, first 2 shown]
.LBB0_15:
	s_nop 0
	s_sendmsg sendmsg(MSG_DEALLOC_VGPRS)
	s_endpgm
	.section	.rodata,"a",@progbits
	.p2align	6, 0x0
	.amdhsa_kernel fft_rtc_back_len320_factors_10_4_4_2_wgs_64_tpt_16_halfLds_half_ip_CI_sbrr_dirReg
		.amdhsa_group_segment_fixed_size 0
		.amdhsa_private_segment_fixed_size 0
		.amdhsa_kernarg_size 88
		.amdhsa_user_sgpr_count 15
		.amdhsa_user_sgpr_dispatch_ptr 0
		.amdhsa_user_sgpr_queue_ptr 0
		.amdhsa_user_sgpr_kernarg_segment_ptr 1
		.amdhsa_user_sgpr_dispatch_id 0
		.amdhsa_user_sgpr_private_segment_size 0
		.amdhsa_wavefront_size32 1
		.amdhsa_uses_dynamic_stack 0
		.amdhsa_enable_private_segment 0
		.amdhsa_system_sgpr_workgroup_id_x 1
		.amdhsa_system_sgpr_workgroup_id_y 0
		.amdhsa_system_sgpr_workgroup_id_z 0
		.amdhsa_system_sgpr_workgroup_info 0
		.amdhsa_system_vgpr_workitem_id 0
		.amdhsa_next_free_vgpr 112
		.amdhsa_next_free_sgpr 23
		.amdhsa_reserve_vcc 1
		.amdhsa_float_round_mode_32 0
		.amdhsa_float_round_mode_16_64 0
		.amdhsa_float_denorm_mode_32 3
		.amdhsa_float_denorm_mode_16_64 3
		.amdhsa_dx10_clamp 1
		.amdhsa_ieee_mode 1
		.amdhsa_fp16_overflow 0
		.amdhsa_workgroup_processor_mode 1
		.amdhsa_memory_ordered 1
		.amdhsa_forward_progress 0
		.amdhsa_shared_vgpr_count 0
		.amdhsa_exception_fp_ieee_invalid_op 0
		.amdhsa_exception_fp_denorm_src 0
		.amdhsa_exception_fp_ieee_div_zero 0
		.amdhsa_exception_fp_ieee_overflow 0
		.amdhsa_exception_fp_ieee_underflow 0
		.amdhsa_exception_fp_ieee_inexact 0
		.amdhsa_exception_int_div_zero 0
	.end_amdhsa_kernel
	.text
.Lfunc_end0:
	.size	fft_rtc_back_len320_factors_10_4_4_2_wgs_64_tpt_16_halfLds_half_ip_CI_sbrr_dirReg, .Lfunc_end0-fft_rtc_back_len320_factors_10_4_4_2_wgs_64_tpt_16_halfLds_half_ip_CI_sbrr_dirReg
                                        ; -- End function
	.section	.AMDGPU.csdata,"",@progbits
; Kernel info:
; codeLenInByte = 11356
; NumSgprs: 25
; NumVgprs: 112
; ScratchSize: 0
; MemoryBound: 0
; FloatMode: 240
; IeeeMode: 1
; LDSByteSize: 0 bytes/workgroup (compile time only)
; SGPRBlocks: 3
; VGPRBlocks: 13
; NumSGPRsForWavesPerEU: 25
; NumVGPRsForWavesPerEU: 112
; Occupancy: 12
; WaveLimiterHint : 1
; COMPUTE_PGM_RSRC2:SCRATCH_EN: 0
; COMPUTE_PGM_RSRC2:USER_SGPR: 15
; COMPUTE_PGM_RSRC2:TRAP_HANDLER: 0
; COMPUTE_PGM_RSRC2:TGID_X_EN: 1
; COMPUTE_PGM_RSRC2:TGID_Y_EN: 0
; COMPUTE_PGM_RSRC2:TGID_Z_EN: 0
; COMPUTE_PGM_RSRC2:TIDIG_COMP_CNT: 0
	.text
	.p2alignl 7, 3214868480
	.fill 96, 4, 3214868480
	.type	__hip_cuid_ba90f8aa4ee3d8a7,@object ; @__hip_cuid_ba90f8aa4ee3d8a7
	.section	.bss,"aw",@nobits
	.globl	__hip_cuid_ba90f8aa4ee3d8a7
__hip_cuid_ba90f8aa4ee3d8a7:
	.byte	0                               ; 0x0
	.size	__hip_cuid_ba90f8aa4ee3d8a7, 1

	.ident	"AMD clang version 19.0.0git (https://github.com/RadeonOpenCompute/llvm-project roc-6.4.0 25133 c7fe45cf4b819c5991fe208aaa96edf142730f1d)"
	.section	".note.GNU-stack","",@progbits
	.addrsig
	.addrsig_sym __hip_cuid_ba90f8aa4ee3d8a7
	.amdgpu_metadata
---
amdhsa.kernels:
  - .args:
      - .actual_access:  read_only
        .address_space:  global
        .offset:         0
        .size:           8
        .value_kind:     global_buffer
      - .offset:         8
        .size:           8
        .value_kind:     by_value
      - .actual_access:  read_only
        .address_space:  global
        .offset:         16
        .size:           8
        .value_kind:     global_buffer
      - .actual_access:  read_only
        .address_space:  global
        .offset:         24
        .size:           8
        .value_kind:     global_buffer
      - .offset:         32
        .size:           8
        .value_kind:     by_value
      - .actual_access:  read_only
        .address_space:  global
        .offset:         40
        .size:           8
        .value_kind:     global_buffer
      - .actual_access:  read_only
        .address_space:  global
        .offset:         48
        .size:           8
        .value_kind:     global_buffer
      - .offset:         56
        .size:           4
        .value_kind:     by_value
      - .actual_access:  read_only
        .address_space:  global
        .offset:         64
        .size:           8
        .value_kind:     global_buffer
      - .actual_access:  read_only
        .address_space:  global
        .offset:         72
        .size:           8
        .value_kind:     global_buffer
      - .address_space:  global
        .offset:         80
        .size:           8
        .value_kind:     global_buffer
    .group_segment_fixed_size: 0
    .kernarg_segment_align: 8
    .kernarg_segment_size: 88
    .language:       OpenCL C
    .language_version:
      - 2
      - 0
    .max_flat_workgroup_size: 64
    .name:           fft_rtc_back_len320_factors_10_4_4_2_wgs_64_tpt_16_halfLds_half_ip_CI_sbrr_dirReg
    .private_segment_fixed_size: 0
    .sgpr_count:     25
    .sgpr_spill_count: 0
    .symbol:         fft_rtc_back_len320_factors_10_4_4_2_wgs_64_tpt_16_halfLds_half_ip_CI_sbrr_dirReg.kd
    .uniform_work_group_size: 1
    .uses_dynamic_stack: false
    .vgpr_count:     112
    .vgpr_spill_count: 0
    .wavefront_size: 32
    .workgroup_processor_mode: 1
amdhsa.target:   amdgcn-amd-amdhsa--gfx1100
amdhsa.version:
  - 1
  - 2
...

	.end_amdgpu_metadata
